;; amdgpu-corpus repo=ROCm/rocFFT kind=compiled arch=gfx1100 opt=O3
	.text
	.amdgcn_target "amdgcn-amd-amdhsa--gfx1100"
	.amdhsa_code_object_version 6
	.protected	bluestein_single_back_len1701_dim1_sp_op_CI_CI ; -- Begin function bluestein_single_back_len1701_dim1_sp_op_CI_CI
	.globl	bluestein_single_back_len1701_dim1_sp_op_CI_CI
	.p2align	8
	.type	bluestein_single_back_len1701_dim1_sp_op_CI_CI,@function
bluestein_single_back_len1701_dim1_sp_op_CI_CI: ; @bluestein_single_back_len1701_dim1_sp_op_CI_CI
; %bb.0:
	s_load_b128 s[16:19], s[0:1], 0x28
	v_mul_u32_u24_e32 v1, 0x411, v0
	s_mov_b32 s2, exec_lo
	v_mov_b32_e32 v7, 0
	s_delay_alu instid0(VALU_DEP_2) | instskip(NEXT) | instid1(VALU_DEP_1)
	v_lshrrev_b32_e32 v1, 16, v1
	v_add_nc_u32_e32 v6, s15, v1
	s_waitcnt lgkmcnt(0)
	s_delay_alu instid0(VALU_DEP_1)
	v_cmpx_gt_u64_e64 s[16:17], v[6:7]
	s_cbranch_execz .LBB0_10
; %bb.1:
	s_clause 0x1
	s_load_b128 s[4:7], s[0:1], 0x18
	s_load_b128 s[8:11], s[0:1], 0x0
	v_mul_lo_u16 v1, v1, 63
                                        ; implicit-def: $vgpr244
	s_delay_alu instid0(VALU_DEP_1) | instskip(NEXT) | instid1(VALU_DEP_1)
	v_sub_nc_u16 v54, v0, v1
	v_and_b32_e32 v206, 0xffff, v54
	v_mov_b32_e32 v4, v6
	scratch_store_b64 off, v[4:5], off offset:12 ; 8-byte Folded Spill
	s_waitcnt lgkmcnt(0)
	s_load_b128 s[12:15], s[4:5], 0x0
	s_waitcnt lgkmcnt(0)
	v_mad_u64_u32 v[0:1], null, s14, v6, 0
	v_mad_u64_u32 v[2:3], null, s12, v206, 0
	s_mul_i32 s3, s13, 0x11b8
	s_mul_hi_u32 s4, s12, 0x11b8
	s_mul_i32 s5, s13, 0xffffde88
	s_add_i32 s3, s4, s3
	s_mul_hi_u32 s4, s12, 0xffffde88
	s_delay_alu instid0(VALU_DEP_1) | instskip(NEXT) | instid1(VALU_DEP_2)
	v_mad_u64_u32 v[4:5], null, s15, v6, v[1:2]
	v_mov_b32_e32 v1, v3
	v_lshlrev_b32_e32 v255, 3, v206
	s_sub_i32 s4, s4, s12
	v_add_co_u32 v247, null, 0xbd, v206
	s_delay_alu instid0(VALU_DEP_3) | instskip(SKIP_3) | instid1(VALU_DEP_1)
	v_mad_u64_u32 v[5:6], null, s13, v206, v[1:2]
	global_load_b64 v[17:18], v255, s[8:9]
	v_mov_b32_e32 v1, v4
	v_add_co_u32 v12, s2, s8, v255
	v_add_co_ci_u32_e64 v13, null, s9, 0, s2
	v_mov_b32_e32 v3, v5
	s_delay_alu instid0(VALU_DEP_4) | instskip(NEXT) | instid1(VALU_DEP_4)
	v_lshlrev_b64 v[4:5], 3, v[0:1]
	v_add_co_u32 v0, vcc_lo, 0x1000, v12
	s_delay_alu instid0(VALU_DEP_4) | instskip(NEXT) | instid1(VALU_DEP_4)
	v_add_co_ci_u32_e32 v1, vcc_lo, 0, v13, vcc_lo
	v_lshlrev_b64 v[2:3], 3, v[2:3]
	s_delay_alu instid0(VALU_DEP_4) | instskip(SKIP_2) | instid1(VALU_DEP_2)
	v_add_co_u32 v4, vcc_lo, s18, v4
	v_add_co_ci_u32_e32 v5, vcc_lo, s19, v5, vcc_lo
	s_mul_i32 s2, s12, 0x11b8
	v_add_co_u32 v2, vcc_lo, v4, v2
	s_delay_alu instid0(VALU_DEP_2) | instskip(SKIP_1) | instid1(VALU_DEP_2)
	v_add_co_ci_u32_e32 v3, vcc_lo, v5, v3, vcc_lo
	s_mulk_i32 s12, 0xde88
	v_add_co_u32 v4, vcc_lo, v2, s2
	s_delay_alu instid0(VALU_DEP_2)
	v_add_co_ci_u32_e32 v5, vcc_lo, s3, v3, vcc_lo
	global_load_b64 v[6:7], v[2:3], off
	global_load_b64 v[22:23], v[0:1], off offset:440
	global_load_b64 v[8:9], v[4:5], off
	v_add_co_u32 v2, vcc_lo, 0x2000, v12
	v_add_co_ci_u32_e32 v3, vcc_lo, 0, v13, vcc_lo
	v_add_co_u32 v10, vcc_lo, v4, s2
	v_add_co_ci_u32_e32 v11, vcc_lo, s3, v5, vcc_lo
	global_load_b64 v[24:25], v[2:3], off offset:880
	global_load_b64 v[4:5], v[10:11], off
	s_clause 0x5
	global_load_b64 v[20:21], v255, s[8:9] offset:504
	global_load_b64 v[71:72], v255, s[8:9] offset:1008
	global_load_b64 v[65:66], v255, s[8:9] offset:1512
	global_load_b64 v[69:70], v[0:1], off offset:944
	global_load_b64 v[67:68], v[0:1], off offset:1448
	;; [unrolled: 1-line block ×3, first 2 shown]
	s_add_i32 s4, s4, s5
	v_add_co_u32 v10, vcc_lo, v10, s12
	v_add_co_ci_u32_e32 v11, vcc_lo, s4, v11, vcc_lo
	v_add_nc_u32_e32 v60, 0x2000, v255
	v_add_nc_u32_e32 v76, 0x2400, v255
	;; [unrolled: 1-line block ×4, first 2 shown]
	s_waitcnt vmcnt(11)
	scratch_store_b64 off, v[17:18], off offset:28 ; 8-byte Folded Spill
	s_clause 0x2
	global_load_b64 v[73:74], v[2:3], off offset:1384
	global_load_b64 v[63:64], v[2:3], off offset:1888
	;; [unrolled: 1-line block ×3, first 2 shown]
	s_waitcnt vmcnt(13)
	v_mul_f32_e32 v15, v6, v18
	v_mul_f32_e32 v14, v7, v18
	s_waitcnt vmcnt(11)
	v_mul_f32_e32 v16, v9, v23
	scratch_store_b64 off, v[22:23], off offset:36 ; 8-byte Folded Spill
	v_fma_f32 v15, v7, v17, -v15
	s_waitcnt vmcnt(10)
	scratch_store_b64 off, v[24:25], off offset:44 ; 8-byte Folded Spill
	v_add_co_u32 v7, vcc_lo, v10, s2
	v_fmac_f32_e32 v14, v6, v17
	v_mul_f32_e32 v6, v8, v23
	v_fmac_f32_e32 v16, v8, v22
	v_add_co_ci_u32_e32 v8, vcc_lo, s3, v11, vcc_lo
	s_delay_alu instid0(VALU_DEP_3)
	v_fma_f32 v17, v9, v22, -v6
	s_clause 0x1
	global_load_b64 v[9:10], v[10:11], off
	global_load_b64 v[18:19], v[7:8], off
	s_waitcnt vmcnt(11)
	v_mul_f32_e32 v6, v4, v25
	v_add_co_u32 v7, vcc_lo, v7, s2
	v_add_co_ci_u32_e32 v8, vcc_lo, s3, v8, vcc_lo
	s_delay_alu instid0(VALU_DEP_3)
	v_fma_f32 v6, v5, v24, -v6
	v_mul_f32_e32 v5, v5, v25
	s_waitcnt vmcnt(10)
	scratch_store_b64 off, v[20:21], off offset:20 ; 8-byte Folded Spill
	s_waitcnt vmcnt(1)
	v_dual_fmac_f32 v5, v4, v24 :: v_dual_mul_f32 v4, v9, v21
	s_delay_alu instid0(VALU_DEP_1) | instskip(SKIP_2) | instid1(VALU_DEP_2)
	v_fma_f32 v11, v10, v20, -v4
	v_mul_f32_e32 v10, v10, v21
	v_add_co_u32 v4, vcc_lo, v7, s12
	v_fmac_f32_e32 v10, v9, v20
	ds_store_b64 v255, v[16:17] offset:4536
	ds_store_b64 v255, v[5:6] offset:9072
	ds_store_2addr_b64 v255, v[14:15], v[10:11] offset1:63
	v_add_co_ci_u32_e32 v5, vcc_lo, s4, v8, vcc_lo
	v_add_co_u32 v9, vcc_lo, v4, s2
	s_delay_alu instid0(VALU_DEP_2) | instskip(SKIP_2) | instid1(VALU_DEP_4)
	v_add_co_ci_u32_e32 v10, vcc_lo, s3, v5, vcc_lo
	v_add_co_u32 v11, vcc_lo, 0x3000, v12
	v_add_co_ci_u32_e32 v12, vcc_lo, 0, v13, vcc_lo
	v_add_co_u32 v13, vcc_lo, v9, s2
	s_delay_alu instid0(VALU_DEP_4) | instskip(NEXT) | instid1(VALU_DEP_2)
	v_add_co_ci_u32_e32 v14, vcc_lo, s3, v10, vcc_lo
	v_add_co_u32 v15, vcc_lo, v13, s12
	s_delay_alu instid0(VALU_DEP_2) | instskip(NEXT) | instid1(VALU_DEP_2)
	v_add_co_ci_u32_e32 v16, vcc_lo, s4, v14, vcc_lo
	v_add_co_u32 v20, vcc_lo, v15, s2
	s_delay_alu instid0(VALU_DEP_2) | instskip(NEXT) | instid1(VALU_DEP_2)
	;; [unrolled: 3-line block ×15, first 2 shown]
	v_add_co_ci_u32_e32 v47, vcc_lo, s3, v45, vcc_lo
	v_add_co_u32 v49, vcc_lo, v46, s12
	s_delay_alu instid0(VALU_DEP_2)
	v_add_co_ci_u32_e32 v50, vcc_lo, s4, v47, vcc_lo
	global_load_b64 v[46:47], v[46:47], off
	s_clause 0x1
	global_load_b64 v[51:52], v[11:12], off offset:312
	global_load_b64 v[58:59], v[11:12], off offset:816
	global_load_b64 v[9:10], v[9:10], off
	global_load_b64 v[4:5], v[4:5], off
	s_clause 0x5
	scratch_store_b64 off, v[69:70], off offset:172
	scratch_store_b64 off, v[71:72], off offset:180
	;; [unrolled: 1-line block ×6, first 2 shown]
	s_waitcnt vmcnt(3)
	v_mul_f32_e32 v11, v47, v52
	scratch_store_b64 off, v[51:52], off offset:68 ; 8-byte Folded Spill
	s_waitcnt vmcnt(1)
	v_mul_f32_e32 v17, v10, v68
	v_mul_f32_e32 v6, v46, v52
	scratch_store_b64 off, v[58:59], off offset:60 ; 8-byte Folded Spill
	v_fmac_f32_e32 v11, v46, v51
	v_add_co_u32 v46, vcc_lo, v49, s2
	v_fmac_f32_e32 v17, v9, v67
	v_fma_f32 v12, v47, v51, -v6
	v_add_co_ci_u32_e32 v47, vcc_lo, s3, v50, vcc_lo
	s_delay_alu instid0(VALU_DEP_4)
	v_add_co_u32 v51, vcc_lo, v46, s2
	scratch_store_b64 off, v[63:64], off offset:148 ; 8-byte Folded Spill
	v_add_co_ci_u32_e32 v52, vcc_lo, s3, v47, vcc_lo
	v_cmp_gt_u16_e32 vcc_lo, 18, v54
	global_load_b64 v[51:52], v[51:52], off
	s_waitcnt vmcnt(0)
	v_mul_f32_e32 v6, v51, v59
	s_delay_alu instid0(VALU_DEP_1) | instskip(SKIP_2) | instid1(VALU_DEP_2)
	v_fma_f32 v53, v52, v58, -v6
	v_mul_f32_e32 v52, v52, v59
	v_add_nc_u32_e32 v6, 0x3000, v255
	v_fmac_f32_e32 v52, v51, v58
	ds_store_2addr_b64 v6, v[11:12], v[52:53] offset0:39 offset1:102
	v_mul_f32_e32 v6, v18, v70
	v_dual_mul_f32 v11, v19, v70 :: v_dual_add_nc_u32 v70, 0x2c00, v255
	s_delay_alu instid0(VALU_DEP_2) | instskip(NEXT) | instid1(VALU_DEP_2)
	v_fma_f32 v12, v19, v69, -v6
	v_dual_mul_f32 v6, v9, v68 :: v_dual_fmac_f32 v11, v18, v69
	v_add_nc_u32_e32 v69, 0x400, v255
	v_add_nc_u32_e32 v68, 0xc00, v255
	s_delay_alu instid0(VALU_DEP_3)
	v_fma_f32 v18, v10, v67, -v6
	global_load_b64 v[6:7], v[7:8], off
	global_load_b64 v[9:10], v[13:14], off
	ds_store_2addr_b64 v55, v[11:12], v[17:18] offset0:118 offset1:181
	s_waitcnt vmcnt(1)
	v_mul_f32_e32 v8, v6, v74
	s_delay_alu instid0(VALU_DEP_1) | instskip(SKIP_2) | instid1(VALU_DEP_1)
	v_fma_f32 v8, v7, v73, -v8
	v_mul_f32_e32 v7, v7, v74
	s_waitcnt vmcnt(0)
	v_dual_fmac_f32 v7, v6, v73 :: v_dual_mul_f32 v6, v9, v64
	s_delay_alu instid0(VALU_DEP_1) | instskip(SKIP_2) | instid1(VALU_DEP_2)
	v_fma_f32 v11, v10, v63, -v6
	v_mul_f32_e32 v10, v10, v64
	v_mul_f32_e32 v6, v4, v72
	v_fmac_f32_e32 v10, v9, v63
	s_delay_alu instid0(VALU_DEP_2)
	v_fma_f32 v6, v5, v71, -v6
	v_mul_f32_e32 v5, v5, v72
	v_add_nc_u32_e32 v63, 0x1c00, v255
	ds_store_2addr_b64 v60, v[7:8], v[10:11] offset0:173 offset1:236
	global_load_b64 v[7:8], v[15:16], off
	s_waitcnt vmcnt(0)
	v_dual_fmac_f32 v5, v4, v71 :: v_dual_mul_f32 v4, v7, v66
	s_delay_alu instid0(VALU_DEP_1) | instskip(SKIP_1) | instid1(VALU_DEP_1)
	v_fma_f32 v9, v8, v65, -v4
	v_mul_f32_e32 v8, v8, v66
	v_fmac_f32_e32 v8, v7, v65
	ds_store_2addr_b64 v255, v[5:6], v[8:9] offset0:126 offset1:189
	global_load_b64 v[4:5], v[20:21], off
	global_load_b64 v[7:8], v[26:27], off
	s_clause 0x3
	global_load_b64 v[13:14], v[0:1], off offset:2456
	global_load_b64 v[17:18], v[0:1], off offset:2960
	global_load_b64 v[11:12], v[0:1], off offset:3464
	global_load_b64 v[9:10], v[0:1], off offset:3968
	v_add_nc_u32_e32 v48, 0x1400, v255
	s_waitcnt vmcnt(3)
	v_mul_f32_e32 v0, v7, v14
	scratch_store_b64 off, v[13:14], off offset:196 ; 8-byte Folded Spill
	v_mul_f32_e32 v6, v4, v62
	v_fma_f32 v1, v8, v13, -v0
	v_mul_f32_e32 v0, v8, v14
	s_delay_alu instid0(VALU_DEP_3) | instskip(SKIP_1) | instid1(VALU_DEP_3)
	v_fma_f32 v6, v5, v61, -v6
	v_dual_mul_f32 v5, v5, v62 :: v_dual_add_nc_u32 v62, 0x1800, v255
	v_fmac_f32_e32 v0, v7, v13
	s_delay_alu instid0(VALU_DEP_2)
	v_fmac_f32_e32 v5, v4, v61
	v_add_nc_u32_e32 v61, 0x2800, v255
	ds_store_2addr_b64 v48, v[5:6], v[0:1] offset0:116 offset1:179
	global_load_b64 v[0:1], v[22:23], off
	s_clause 0x3
	global_load_b64 v[4:5], v[2:3], off offset:2392
	global_load_b64 v[13:14], v[2:3], off offset:2896
	;; [unrolled: 1-line block ×4, first 2 shown]
	s_waitcnt vmcnt(3)
	v_mul_f32_e32 v2, v0, v5
	scratch_store_b64 off, v[4:5], off offset:228 ; 8-byte Folded Spill
	s_waitcnt vmcnt(2)
	scratch_store_b64 off, v[13:14], off offset:204 ; 8-byte Folded Spill
	v_fma_f32 v2, v1, v4, -v2
	v_mul_f32_e32 v1, v1, v5
	s_delay_alu instid0(VALU_DEP_1) | instskip(SKIP_3) | instid1(VALU_DEP_1)
	v_fmac_f32_e32 v1, v0, v4
	global_load_b64 v[3:4], v[28:29], off
	s_waitcnt vmcnt(0)
	v_mul_f32_e32 v0, v3, v14
	v_fma_f32 v5, v4, v13, -v0
	v_mul_f32_e32 v4, v4, v14
	s_delay_alu instid0(VALU_DEP_1)
	v_fmac_f32_e32 v4, v3, v13
	ds_store_2addr_b64 v61, v[1:2], v[4:5] offset0:43 offset1:106
	global_load_b64 v[0:1], v[24:25], off
	s_clause 0x3
	global_load_b64 v[3:4], v255, s[8:9] offset:2016
	global_load_b64 v[21:22], v255, s[8:9] offset:2520
	;; [unrolled: 1-line block ×4, first 2 shown]
	s_clause 0x5
	scratch_store_b64 off, v[17:18], off offset:124
	scratch_store_b64 off, v[19:20], off offset:132
	;; [unrolled: 1-line block ×6, first 2 shown]
	s_waitcnt vmcnt(3)
	v_mul_f32_e32 v2, v0, v4
	scratch_store_b64 off, v[3:4], off offset:220 ; 8-byte Folded Spill
	s_waitcnt vmcnt(2)
	scratch_store_b64 off, v[21:22], off offset:212 ; 8-byte Folded Spill
	s_waitcnt vmcnt(1)
	;; [unrolled: 2-line block ×3, first 2 shown]
	scratch_store_b64 off, v[13:14], off offset:108 ; 8-byte Folded Spill
	v_fma_f32 v2, v1, v3, -v2
	v_mul_f32_e32 v1, v1, v4
	s_delay_alu instid0(VALU_DEP_1) | instskip(SKIP_3) | instid1(VALU_DEP_1)
	v_fmac_f32_e32 v1, v0, v3
	global_load_b64 v[3:4], v[30:31], off
	s_waitcnt vmcnt(0)
	v_mul_f32_e32 v0, v3, v22
	v_fma_f32 v5, v4, v21, -v0
	v_mul_f32_e32 v4, v4, v22
	s_delay_alu instid0(VALU_DEP_1)
	v_fmac_f32_e32 v4, v3, v21
	ds_store_2addr_b64 v69, v[1:2], v[4:5] offset0:124 offset1:187
	global_load_b64 v[0:1], v[32:33], off
	global_load_b64 v[3:4], v[38:39], off
	s_waitcnt vmcnt(1)
	v_mul_f32_e32 v2, v0, v18
	s_delay_alu instid0(VALU_DEP_1) | instskip(SKIP_2) | instid1(VALU_DEP_1)
	v_fma_f32 v2, v1, v17, -v2
	v_mul_f32_e32 v1, v1, v18
	s_waitcnt vmcnt(0)
	v_dual_fmac_f32 v1, v0, v17 :: v_dual_mul_f32 v0, v3, v12
	s_delay_alu instid0(VALU_DEP_1) | instskip(SKIP_1) | instid1(VALU_DEP_1)
	v_fma_f32 v5, v4, v11, -v0
	v_mul_f32_e32 v4, v4, v12
	v_fmac_f32_e32 v4, v3, v11
	ds_store_2addr_b64 v62, v[1:2], v[4:5] offset0:114 offset1:177
	global_load_b64 v[0:1], v[34:35], off
	global_load_b64 v[3:4], v[40:41], off
	s_waitcnt vmcnt(1)
	v_mul_f32_e32 v2, v0, v20
	s_delay_alu instid0(VALU_DEP_1) | instskip(SKIP_1) | instid1(VALU_DEP_1)
	v_fma_f32 v2, v1, v19, -v2
	v_mul_f32_e32 v1, v1, v20
	v_fmac_f32_e32 v1, v0, v19
	s_waitcnt vmcnt(0)
	v_mul_f32_e32 v0, v3, v7
	s_delay_alu instid0(VALU_DEP_1) | instskip(SKIP_1) | instid1(VALU_DEP_1)
	v_fma_f32 v5, v4, v6, -v0
	v_mul_f32_e32 v4, v4, v7
	v_fmac_f32_e32 v4, v3, v6
	ds_store_2addr_b64 v61, v[1:2], v[4:5] offset0:169 offset1:232
	global_load_b64 v[0:1], v[36:37], off
	global_load_b64 v[3:4], v[42:43], off
	s_waitcnt vmcnt(1)
	v_mul_f32_e32 v2, v0, v16
	s_delay_alu instid0(VALU_DEP_1) | instskip(SKIP_2) | instid1(VALU_DEP_1)
	v_fma_f32 v2, v1, v15, -v2
	v_mul_f32_e32 v1, v1, v16
	s_waitcnt vmcnt(0)
	v_dual_fmac_f32 v1, v0, v15 :: v_dual_mul_f32 v0, v3, v14
	s_delay_alu instid0(VALU_DEP_1) | instskip(SKIP_1) | instid1(VALU_DEP_1)
	v_fma_f32 v5, v4, v13, -v0
	v_mul_f32_e32 v4, v4, v14
	v_fmac_f32_e32 v4, v3, v13
	ds_store_2addr_b64 v221, v[1:2], v[4:5] offset0:122 offset1:185
	global_load_b64 v[0:1], v[44:45], off
	global_load_b64 v[3:4], v[46:47], off
	s_waitcnt vmcnt(1)
	v_mul_f32_e32 v2, v0, v10
	s_delay_alu instid0(VALU_DEP_1) | instskip(SKIP_1) | instid1(VALU_DEP_1)
	v_fma_f32 v2, v1, v9, -v2
	v_mul_f32_e32 v1, v1, v10
	v_fmac_f32_e32 v1, v0, v9
	s_waitcnt vmcnt(0)
	v_mul_f32_e32 v0, v3, v57
	s_delay_alu instid0(VALU_DEP_1) | instskip(SKIP_1) | instid1(VALU_DEP_1)
	v_fma_f32 v5, v4, v56, -v0
	v_mul_f32_e32 v4, v4, v57
	v_fmac_f32_e32 v4, v3, v56
	ds_store_2addr_b64 v63, v[1:2], v[4:5] offset0:112 offset1:175
	global_load_b64 v[0:1], v[49:50], off
	global_load_b64 v[3:4], v255, s[8:9] offset:4032
	s_load_b128 s[4:7], s[6:7], 0x0
	s_waitcnt vmcnt(0)
	v_mul_f32_e32 v2, v0, v4
	scratch_store_b64 off, v[3:4], off offset:84 ; 8-byte Folded Spill
	v_fma_f32 v2, v1, v3, -v2
	v_mul_f32_e32 v1, v1, v4
	s_delay_alu instid0(VALU_DEP_1)
	v_fmac_f32_e32 v1, v0, v3
	ds_store_b64 v255, v[1:2] offset:4032
	s_waitcnt lgkmcnt(0)
	s_waitcnt_vscnt null, 0x0
	s_barrier
	buffer_gl0_inv
	ds_load_2addr_b64 v[4:7], v255 offset1:63
	ds_load_2addr_b64 v[0:3], v68 offset0:120 offset1:183
	ds_load_2addr_b64 v[49:52], v60 offset0:110 offset1:173
	s_waitcnt lgkmcnt(1)
	v_dual_add_f32 v9, v5, v3 :: v_dual_add_f32 v8, v4, v2
	s_waitcnt lgkmcnt(0)
	s_delay_alu instid0(VALU_DEP_1) | instskip(NEXT) | instid1(VALU_DEP_2)
	v_add_f32_e32 v47, v9, v50
	v_dual_add_f32 v9, v3, v50 :: v_dual_add_f32 v46, v8, v49
	v_add_f32_e32 v8, v2, v49
	v_dual_sub_f32 v2, v2, v49 :: v_dual_sub_f32 v3, v3, v50
	s_delay_alu instid0(VALU_DEP_3) | instskip(NEXT) | instid1(VALU_DEP_3)
	v_fma_f32 v57, -0.5, v9, v5
	v_fma_f32 v56, -0.5, v8, v4
	s_delay_alu instid0(VALU_DEP_2) | instskip(SKIP_2) | instid1(VALU_DEP_4)
	v_fmamk_f32 v59, v2, 0xbf5db3d7, v57
	v_fmac_f32_e32 v57, 0x3f5db3d7, v2
	v_mul_lo_u16 v2, v54, 3
	v_fmamk_f32 v58, v3, 0x3f5db3d7, v56
	v_fmac_f32_e32 v56, 0xbf5db3d7, v3
	s_delay_alu instid0(VALU_DEP_3) | instskip(NEXT) | instid1(VALU_DEP_1)
	v_and_b32_e32 v2, 0xffff, v2
	v_lshlrev_b32_e32 v53, 3, v2
	ds_load_b64 v[44:45], v255 offset:13104
	ds_load_2addr_b64 v[40:43], v55 offset0:118 offset1:181
	ds_load_2addr_b64 v[32:35], v255 offset0:126 offset1:189
	;; [unrolled: 1-line block ×10, first 2 shown]
	s_waitcnt lgkmcnt(0)
	s_barrier
	buffer_gl0_inv
	ds_store_2addr_b64 v53, v[46:47], v[58:59] offset1:1
	ds_store_b64 v53, v[56:57] offset:16
	v_dual_add_f32 v46, v6, v40 :: v_dual_add_f32 v47, v7, v41
	v_dual_add_f32 v49, v40, v51 :: v_dual_sub_f32 v50, v41, v52
	s_delay_alu instid0(VALU_DEP_2) | instskip(SKIP_1) | instid1(VALU_DEP_3)
	v_dual_add_f32 v41, v41, v52 :: v_dual_add_f32 v46, v46, v51
	v_sub_f32_e32 v51, v40, v51
	v_fma_f32 v6, -0.5, v49, v6
	v_add_co_u32 v49, s2, v206, 63
	s_delay_alu instid0(VALU_DEP_4) | instskip(NEXT) | instid1(VALU_DEP_3)
	v_fmac_f32_e32 v7, -0.5, v41
	v_dual_add_f32 v47, v47, v52 :: v_dual_fmamk_f32 v40, v50, 0x3f5db3d7, v6
	v_fmac_f32_e32 v6, 0xbf5db3d7, v50
	v_add_co_ci_u32_e64 v50, null, 0, 0, s2
	s_delay_alu instid0(VALU_DEP_4) | instskip(SKIP_2) | instid1(VALU_DEP_1)
	v_fmamk_f32 v41, v51, 0xbf5db3d7, v7
	v_fmac_f32_e32 v7, 0x3f5db3d7, v51
	v_mul_u32_u24_e32 v51, 3, v49
	v_lshlrev_b32_e32 v51, 3, v51
	ds_store_2addr_b64 v51, v[46:47], v[40:41] offset1:1
	ds_store_b64 v51, v[6:7] offset:16
	v_add_f32_e32 v40, v32, v42
	v_dual_add_f32 v6, v42, v36 :: v_dual_add_f32 v7, v43, v37
	v_add_co_u32 v46, null, 0x7e, v206
	v_add_f32_e32 v41, v33, v43
	v_dual_sub_f32 v43, v43, v37 :: v_dual_sub_f32 v42, v42, v36
	s_delay_alu instid0(VALU_DEP_4) | instskip(SKIP_3) | instid1(VALU_DEP_4)
	v_fma_f32 v6, -0.5, v6, v32
	v_fma_f32 v7, -0.5, v7, v33
	v_add_f32_e32 v32, v40, v36
	v_mul_u32_u24_e32 v40, 3, v46
	v_dual_add_f32 v33, v41, v37 :: v_dual_fmamk_f32 v36, v43, 0x3f5db3d7, v6
	s_delay_alu instid0(VALU_DEP_4) | instskip(NEXT) | instid1(VALU_DEP_3)
	v_dual_fmamk_f32 v37, v42, 0xbf5db3d7, v7 :: v_dual_fmac_f32 v6, 0xbf5db3d7, v43
	v_dual_fmac_f32 v7, 0x3f5db3d7, v42 :: v_dual_lshlrev_b32 v40, 3, v40
	v_add_co_u32 v41, null, 0x1b9, v206
	v_add_co_u32 v42, null, 0x1f8, v206
	ds_store_2addr_b64 v40, v[32:33], v[36:37] offset1:1
	ds_store_b64 v40, v[6:7] offset:16
	v_add_f32_e32 v33, v35, v29
	v_sub_f32_e32 v37, v29, v39
	v_dual_add_f32 v29, v29, v39 :: v_dual_add_f32 v32, v34, v28
	v_add_f32_e32 v36, v28, v38
	s_delay_alu instid0(VALU_DEP_4) | instskip(NEXT) | instid1(VALU_DEP_3)
	v_dual_sub_f32 v28, v28, v38 :: v_dual_add_f32 v33, v33, v39
	v_dual_fmac_f32 v35, -0.5, v29 :: v_dual_add_f32 v32, v32, v38
	s_delay_alu instid0(VALU_DEP_3) | instskip(SKIP_2) | instid1(VALU_DEP_4)
	v_fma_f32 v34, -0.5, v36, v34
	v_add_f32_e32 v29, v21, v31
	v_and_b32_e32 v43, 0xffff, v41
	v_fmamk_f32 v7, v28, 0xbf5db3d7, v35
	v_fmac_f32_e32 v35, 0x3f5db3d7, v28
	v_mul_u32_u24_e32 v28, 3, v247
	v_fmamk_f32 v6, v37, 0x3f5db3d7, v34
	v_fmac_f32_e32 v34, 0xbf5db3d7, v37
	s_delay_alu instid0(VALU_DEP_3)
	v_lshlrev_b32_e32 v28, 3, v28
	ds_store_2addr_b64 v28, v[32:33], v[6:7] offset1:1
	ds_store_b64 v28, v[34:35] offset:16
	scratch_store_b32 off, v28, off offset:484 ; 4-byte Folded Spill
	v_add_f32_e32 v28, v20, v30
	v_dual_add_f32 v6, v30, v24 :: v_dual_add_f32 v7, v31, v25
	v_dual_sub_f32 v30, v30, v24 :: v_dual_sub_f32 v31, v31, v25
	s_delay_alu instid0(VALU_DEP_2) | instskip(NEXT) | instid1(VALU_DEP_4)
	v_fma_f32 v6, -0.5, v6, v20
	v_add_f32_e32 v20, v28, v24
	v_add_co_u32 v24, null, 0xfc, v206
	v_fma_f32 v7, -0.5, v7, v21
	s_delay_alu instid0(VALU_DEP_4) | instskip(NEXT) | instid1(VALU_DEP_3)
	v_dual_add_f32 v21, v29, v25 :: v_dual_fmamk_f32 v28, v31, 0x3f5db3d7, v6
	v_mul_u32_u24_e32 v25, 3, v24
	s_delay_alu instid0(VALU_DEP_3) | instskip(NEXT) | instid1(VALU_DEP_2)
	v_dual_fmac_f32 v6, 0xbf5db3d7, v31 :: v_dual_fmamk_f32 v29, v30, 0xbf5db3d7, v7
	v_dual_fmac_f32 v7, 0x3f5db3d7, v30 :: v_dual_lshlrev_b32 v30, 3, v25
	v_add_f32_e32 v25, v16, v26
	ds_store_2addr_b64 v30, v[20:21], v[28:29] offset1:1
	ds_store_b64 v30, v[6:7] offset:16
	v_dual_add_f32 v21, v23, v17 :: v_dual_sub_f32 v28, v17, v27
	v_dual_add_f32 v17, v17, v27 :: v_dual_add_f32 v20, v22, v16
	v_sub_f32_e32 v16, v16, v26
	v_fma_f32 v22, -0.5, v25, v22
	s_delay_alu instid0(VALU_DEP_4) | instskip(NEXT) | instid1(VALU_DEP_4)
	v_add_f32_e32 v21, v21, v27
	v_dual_fmac_f32 v23, -0.5, v17 :: v_dual_add_f32 v20, v20, v26
	s_delay_alu instid0(VALU_DEP_3) | instskip(NEXT) | instid1(VALU_DEP_2)
	v_fmamk_f32 v6, v28, 0x3f5db3d7, v22
	v_dual_fmac_f32 v22, 0xbf5db3d7, v28 :: v_dual_fmamk_f32 v7, v16, 0xbf5db3d7, v23
	v_fmac_f32_e32 v23, 0x3f5db3d7, v16
	v_add_co_u32 v16, null, 0x13b, v206
	s_delay_alu instid0(VALU_DEP_1) | instskip(NEXT) | instid1(VALU_DEP_1)
	v_mul_u32_u24_e32 v17, 3, v16
	v_lshlrev_b32_e32 v17, 3, v17
	scratch_store_b32 off, v40, off offset:480 ; 4-byte Folded Spill
	v_add_co_u32 v40, null, 0x17a, v206
	scratch_store_b32 off, v17, off offset:476 ; 4-byte Folded Spill
	ds_store_2addr_b64 v17, v[20:21], v[6:7] offset1:1
	ds_store_b64 v17, v[22:23] offset:16
	v_dual_add_f32 v17, v8, v18 :: v_dual_add_f32 v6, v18, v12
	v_dual_add_f32 v7, v19, v13 :: v_dual_add_f32 v20, v9, v19
	v_dual_sub_f32 v19, v19, v13 :: v_dual_sub_f32 v18, v18, v12
	s_delay_alu instid0(VALU_DEP_3) | instskip(NEXT) | instid1(VALU_DEP_3)
	v_fma_f32 v6, -0.5, v6, v8
	v_fma_f32 v7, -0.5, v7, v9
	v_add_f32_e32 v8, v17, v12
	v_mul_u32_u24_e32 v17, 3, v40
	s_delay_alu instid0(VALU_DEP_4) | instskip(NEXT) | instid1(VALU_DEP_4)
	v_dual_add_f32 v9, v20, v13 :: v_dual_fmamk_f32 v12, v19, 0x3f5db3d7, v6
	v_dual_fmamk_f32 v13, v18, 0xbf5db3d7, v7 :: v_dual_fmac_f32 v6, 0xbf5db3d7, v19
	s_delay_alu instid0(VALU_DEP_3)
	v_lshlrev_b32_e32 v17, 3, v17
	v_fmac_f32_e32 v7, 0x3f5db3d7, v18
	v_and_b32_e32 v18, 0xffff, v24
	ds_store_2addr_b64 v17, v[8:9], v[12:13] offset1:1
	ds_store_b64 v17, v[6:7] offset:16
	v_dual_add_f32 v8, v10, v2 :: v_dual_add_f32 v9, v11, v3
	v_dual_add_f32 v12, v2, v14 :: v_dual_sub_f32 v13, v3, v15
	s_delay_alu instid0(VALU_DEP_2) | instskip(SKIP_1) | instid1(VALU_DEP_3)
	v_dual_add_f32 v3, v3, v15 :: v_dual_add_f32 v8, v8, v14
	v_sub_f32_e32 v14, v2, v14
	v_fma_f32 v10, -0.5, v12, v10
	v_mul_u32_u24_e32 v6, 3, v41
	s_delay_alu instid0(VALU_DEP_4) | instskip(SKIP_3) | instid1(VALU_DEP_4)
	v_fmac_f32_e32 v11, -0.5, v3
	v_add_f32_e32 v9, v9, v15
	v_sub_f32_e32 v7, v5, v45
	v_fmamk_f32 v2, v13, 0x3f5db3d7, v10
	v_dual_fmac_f32 v10, 0xbf5db3d7, v13 :: v_dual_fmamk_f32 v3, v14, 0xbf5db3d7, v11
	v_fmac_f32_e32 v11, 0x3f5db3d7, v14
	v_lshlrev_b32_e32 v6, 3, v6
	s_clause 0x1
	scratch_store_b32 off, v51, off offset:488
	scratch_store_b32 off, v6, off offset:468
	ds_store_2addr_b64 v6, v[8:9], v[2:3] offset1:1
	ds_store_b64 v6, v[10:11] offset:16
	v_dual_add_f32 v6, v4, v44 :: v_dual_add_f32 v3, v1, v5
	v_dual_add_f32 v5, v5, v45 :: v_dual_add_f32 v2, v0, v4
	v_dual_sub_f32 v8, v4, v44 :: v_dual_and_b32 v9, 0xff, v46
	s_delay_alu instid0(VALU_DEP_3) | instskip(NEXT) | instid1(VALU_DEP_3)
	v_fma_f32 v0, -0.5, v6, v0
	v_fmac_f32_e32 v1, -0.5, v5
	v_mul_u32_u24_e32 v6, 3, v42
	v_dual_add_f32 v2, v2, v44 :: v_dual_add_f32 v3, v3, v45
	s_delay_alu instid0(VALU_DEP_4) | instskip(NEXT) | instid1(VALU_DEP_4)
	v_fmamk_f32 v4, v7, 0x3f5db3d7, v0
	v_dual_fmac_f32 v0, 0xbf5db3d7, v7 :: v_dual_fmamk_f32 v5, v8, 0xbf5db3d7, v1
	s_delay_alu instid0(VALU_DEP_4)
	v_dual_fmac_f32 v1, 0x3f5db3d7, v8 :: v_dual_lshlrev_b32 v6, 3, v6
	s_clause 0x2
	scratch_store_b32 off, v53, off offset:236
	scratch_store_b32 off, v30, off offset:472
	;; [unrolled: 1-line block ×3, first 2 shown]
	v_and_b32_e32 v17, 0xffff, v16
	scratch_store_b32 off, v6, off offset:460 ; 4-byte Folded Spill
	ds_store_2addr_b64 v6, v[2:3], v[4:5] offset1:1
	ds_store_b64 v6, v[0:1] offset:16
	v_and_b32_e32 v0, 0xff, v54
	s_waitcnt lgkmcnt(0)
	s_waitcnt_vscnt null, 0x0
	s_barrier
	buffer_gl0_inv
	v_and_b32_e32 v8, 0xff, v247
	v_mul_lo_u16 v1, 0xab, v0
	v_and_b32_e32 v44, 0xffff, v40
	v_and_b32_e32 v45, 0xffff, v42
	s_delay_alu instid0(VALU_DEP_3) | instskip(SKIP_1) | instid1(VALU_DEP_1)
	v_lshrrev_b16 v10, 9, v1
	v_and_b32_e32 v1, 0xff, v49
	v_mul_lo_u16 v2, 0xab, v1
	s_delay_alu instid0(VALU_DEP_1) | instskip(NEXT) | instid1(VALU_DEP_4)
	v_lshrrev_b16 v23, 9, v2
	v_mul_lo_u16 v2, v10, 3
	s_delay_alu instid0(VALU_DEP_2) | instskip(NEXT) | instid1(VALU_DEP_2)
	v_mul_lo_u16 v3, v23, 3
	v_sub_nc_u16 v2, v54, v2
	s_delay_alu instid0(VALU_DEP_2) | instskip(NEXT) | instid1(VALU_DEP_2)
	v_sub_nc_u16 v3, v49, v3
	v_and_b32_e32 v11, 0xff, v2
	s_delay_alu instid0(VALU_DEP_2) | instskip(NEXT) | instid1(VALU_DEP_2)
	v_and_b32_e32 v33, 0xff, v3
	v_lshlrev_b32_e32 v2, 4, v11
	s_delay_alu instid0(VALU_DEP_2)
	v_lshlrev_b32_e32 v3, 4, v33
	s_clause 0x1
	global_load_b128 v[144:147], v2, s[10:11]
	global_load_b128 v[148:151], v3, s[10:11]
	ds_load_2addr_b64 v[2:5], v60 offset0:110 offset1:173
	s_waitcnt vmcnt(1) lgkmcnt(0)
	v_mul_f32_e32 v6, v3, v147
	v_mul_f32_e32 v13, v2, v147
	s_waitcnt vmcnt(0)
	v_mul_f32_e32 v35, v4, v151
	s_delay_alu instid0(VALU_DEP_3) | instskip(NEXT) | instid1(VALU_DEP_3)
	v_fma_f32 v12, v2, v146, -v6
	v_dual_mul_f32 v2, v5, v151 :: v_dual_fmac_f32 v13, v3, v146
	s_delay_alu instid0(VALU_DEP_3) | instskip(NEXT) | instid1(VALU_DEP_2)
	v_fmac_f32_e32 v35, v5, v150
	v_fma_f32 v34, v4, v150, -v2
	v_mul_lo_u16 v2, 0xab, v9
	s_delay_alu instid0(VALU_DEP_1) | instskip(SKIP_1) | instid1(VALU_DEP_1)
	v_lshrrev_b16 v36, 9, v2
	v_mul_lo_u16 v2, 0xab, v8
	v_lshrrev_b16 v37, 9, v2
	s_delay_alu instid0(VALU_DEP_3) | instskip(NEXT) | instid1(VALU_DEP_2)
	v_mul_lo_u16 v2, v36, 3
	v_mul_lo_u16 v3, v37, 3
	s_delay_alu instid0(VALU_DEP_2) | instskip(NEXT) | instid1(VALU_DEP_2)
	v_sub_nc_u16 v2, v46, v2
	v_sub_nc_u16 v3, v247, v3
	s_delay_alu instid0(VALU_DEP_2) | instskip(NEXT) | instid1(VALU_DEP_2)
	v_and_b32_e32 v38, 0xff, v2
	v_and_b32_e32 v39, 0xff, v3
	ds_load_2addr_b64 v[2:5], v55 offset0:118 offset1:181
	s_waitcnt lgkmcnt(0)
	v_mul_f32_e32 v6, v3, v149
	v_mul_f32_e32 v51, v2, v149
	s_delay_alu instid0(VALU_DEP_2) | instskip(NEXT) | instid1(VALU_DEP_2)
	v_fma_f32 v47, v2, v148, -v6
	v_dual_fmac_f32 v51, v3, v148 :: v_dual_lshlrev_b32 v2, 4, v38
	v_lshlrev_b32_e32 v3, 4, v39
	s_clause 0x1
	global_load_b128 v[152:155], v2, s[10:11]
	global_load_b128 v[156:159], v3, s[10:11]
	s_waitcnt vmcnt(1)
	v_mul_f32_e32 v2, v5, v153
	v_mul_f32_e32 v53, v4, v153
	s_delay_alu instid0(VALU_DEP_2) | instskip(NEXT) | instid1(VALU_DEP_2)
	v_fma_f32 v52, v4, v152, -v2
	v_fmac_f32_e32 v53, v5, v152
	ds_load_2addr_b64 v[2:5], v76 offset0:108 offset1:171
	s_waitcnt lgkmcnt(0)
	v_mul_f32_e32 v6, v3, v155
	v_mul_f32_e32 v57, v2, v155
	s_waitcnt vmcnt(0)
	v_mul_f32_e32 v59, v4, v159
	s_delay_alu instid0(VALU_DEP_3) | instskip(NEXT) | instid1(VALU_DEP_3)
	v_fma_f32 v56, v2, v154, -v6
	v_dual_mul_f32 v2, v5, v159 :: v_dual_fmac_f32 v57, v3, v154
	s_delay_alu instid0(VALU_DEP_3) | instskip(SKIP_1) | instid1(VALU_DEP_3)
	v_fmac_f32_e32 v59, v5, v158
	v_and_b32_e32 v10, 0xffff, v10
	v_fma_f32 v58, v4, v158, -v2
	v_mul_u32_u24_e32 v2, 0xaaab, v18
	s_delay_alu instid0(VALU_DEP_3) | instskip(NEXT) | instid1(VALU_DEP_2)
	v_mul_u32_u24_e32 v10, 9, v10
	v_lshrrev_b32_e32 v64, 17, v2
	v_mul_u32_u24_e32 v2, 0xaaab, v17
	s_delay_alu instid0(VALU_DEP_3) | instskip(NEXT) | instid1(VALU_DEP_2)
	v_add_lshl_u32 v100, v10, v11, 3
	v_lshrrev_b32_e32 v65, 17, v2
	s_delay_alu instid0(VALU_DEP_4) | instskip(NEXT) | instid1(VALU_DEP_1)
	v_mul_lo_u16 v2, v64, 3
	v_sub_nc_u16 v66, v24, v2
	s_delay_alu instid0(VALU_DEP_3) | instskip(NEXT) | instid1(VALU_DEP_1)
	v_mul_lo_u16 v2, v65, 3
	v_sub_nc_u16 v67, v16, v2
	s_delay_alu instid0(VALU_DEP_3) | instskip(NEXT) | instid1(VALU_DEP_2)
	v_lshlrev_b16 v2, 1, v66
	v_lshlrev_b16 v3, 1, v67
	s_delay_alu instid0(VALU_DEP_2) | instskip(NEXT) | instid1(VALU_DEP_2)
	v_and_b32_e32 v2, 0xffff, v2
	v_and_b32_e32 v3, 0xffff, v3
	s_delay_alu instid0(VALU_DEP_2) | instskip(NEXT) | instid1(VALU_DEP_2)
	v_lshlrev_b32_e32 v6, 3, v2
	v_lshlrev_b32_e32 v7, 3, v3
	ds_load_2addr_b64 v[2:5], v48 offset0:116 offset1:179
	s_clause 0x1
	global_load_b128 v[168:171], v6, s[10:11]
	global_load_b128 v[172:175], v7, s[10:11]
	s_waitcnt lgkmcnt(0)
	v_mul_f32_e32 v14, v3, v157
	v_mul_f32_e32 v72, v2, v157
	s_delay_alu instid0(VALU_DEP_2) | instskip(NEXT) | instid1(VALU_DEP_2)
	v_fma_f32 v71, v2, v156, -v14
	v_fmac_f32_e32 v72, v3, v156
	s_waitcnt vmcnt(1)
	v_mul_f32_e32 v2, v5, v169
	v_mul_f32_e32 v74, v4, v169
	s_delay_alu instid0(VALU_DEP_2) | instskip(NEXT) | instid1(VALU_DEP_2)
	v_fma_f32 v73, v4, v168, -v2
	v_fmac_f32_e32 v74, v5, v168
	ds_load_2addr_b64 v[2:5], v61 offset0:106 offset1:169
	s_waitcnt lgkmcnt(0)
	v_mul_f32_e32 v6, v3, v171
	v_mul_f32_e32 v77, v2, v171
	s_waitcnt vmcnt(0)
	v_mul_f32_e32 v79, v4, v175
	s_delay_alu instid0(VALU_DEP_3) | instskip(NEXT) | instid1(VALU_DEP_3)
	v_fma_f32 v75, v2, v170, -v6
	v_dual_mul_f32 v2, v5, v175 :: v_dual_fmac_f32 v77, v3, v170
	s_delay_alu instid0(VALU_DEP_3) | instskip(NEXT) | instid1(VALU_DEP_2)
	v_fmac_f32_e32 v79, v5, v174
	v_fma_f32 v78, v4, v174, -v2
	v_mul_u32_u24_e32 v2, 0xaaab, v44
	s_delay_alu instid0(VALU_DEP_1) | instskip(SKIP_1) | instid1(VALU_DEP_1)
	v_lshrrev_b32_e32 v80, 17, v2
	v_mul_u32_u24_e32 v2, 0xaaab, v43
	v_lshrrev_b32_e32 v81, 17, v2
	s_delay_alu instid0(VALU_DEP_3) | instskip(NEXT) | instid1(VALU_DEP_1)
	v_mul_lo_u16 v2, v80, 3
	v_sub_nc_u16 v82, v40, v2
	s_delay_alu instid0(VALU_DEP_3) | instskip(NEXT) | instid1(VALU_DEP_1)
	v_mul_lo_u16 v2, v81, 3
	v_sub_nc_u16 v83, v41, v2
	s_delay_alu instid0(VALU_DEP_3) | instskip(NEXT) | instid1(VALU_DEP_2)
	v_lshlrev_b16 v2, 1, v82
	v_lshlrev_b16 v3, 1, v83
	s_delay_alu instid0(VALU_DEP_2) | instskip(NEXT) | instid1(VALU_DEP_2)
	v_and_b32_e32 v2, 0xffff, v2
	v_and_b32_e32 v3, 0xffff, v3
	s_delay_alu instid0(VALU_DEP_2) | instskip(NEXT) | instid1(VALU_DEP_2)
	v_lshlrev_b32_e32 v6, 3, v2
	v_lshlrev_b32_e32 v7, 3, v3
	ds_load_2addr_b64 v[2:5], v62 offset0:114 offset1:177
	s_clause 0x1
	global_load_b128 v[176:179], v6, s[10:11]
	global_load_b128 v[180:183], v7, s[10:11]
	s_waitcnt lgkmcnt(0)
	v_mul_f32_e32 v14, v3, v173
	v_mul_f32_e32 v85, v2, v173
	s_delay_alu instid0(VALU_DEP_2) | instskip(SKIP_1) | instid1(VALU_DEP_2)
	v_fma_f32 v84, v2, v172, -v14
	s_waitcnt vmcnt(1)
	v_dual_fmac_f32 v85, v3, v172 :: v_dual_mul_f32 v2, v5, v177
	v_mul_f32_e32 v87, v4, v177
	s_delay_alu instid0(VALU_DEP_2) | instskip(NEXT) | instid1(VALU_DEP_2)
	v_fma_f32 v86, v4, v176, -v2
	v_fmac_f32_e32 v87, v5, v176
	ds_load_2addr_b64 v[2:5], v70 offset0:104 offset1:167
	s_waitcnt lgkmcnt(0)
	v_mul_f32_e32 v6, v3, v179
	v_mul_f32_e32 v89, v2, v179
	s_waitcnt vmcnt(0)
	v_mul_f32_e32 v91, v4, v183
	s_delay_alu instid0(VALU_DEP_3) | instskip(NEXT) | instid1(VALU_DEP_3)
	v_fma_f32 v88, v2, v178, -v6
	v_dual_mul_f32 v2, v5, v183 :: v_dual_fmac_f32 v89, v3, v178
	s_delay_alu instid0(VALU_DEP_3) | instskip(NEXT) | instid1(VALU_DEP_2)
	v_fmac_f32_e32 v91, v5, v182
	v_fma_f32 v90, v4, v182, -v2
	v_mul_u32_u24_e32 v2, 0xaaab, v45
	s_delay_alu instid0(VALU_DEP_1) | instskip(NEXT) | instid1(VALU_DEP_1)
	v_lshrrev_b32_e32 v92, 17, v2
	v_mul_lo_u16 v2, v92, 3
	s_delay_alu instid0(VALU_DEP_1) | instskip(NEXT) | instid1(VALU_DEP_1)
	v_sub_nc_u16 v93, v42, v2
	v_lshlrev_b16 v2, 1, v93
	s_delay_alu instid0(VALU_DEP_1) | instskip(NEXT) | instid1(VALU_DEP_1)
	v_and_b32_e32 v2, 0xffff, v2
	v_lshlrev_b32_e32 v6, 3, v2
	ds_load_2addr_b64 v[2:5], v63 offset0:112 offset1:175
	global_load_b128 v[184:187], v6, s[10:11]
	s_waitcnt lgkmcnt(0)
	v_mul_f32_e32 v7, v3, v181
	v_mul_f32_e32 v95, v2, v181
	s_delay_alu instid0(VALU_DEP_2) | instskip(SKIP_1) | instid1(VALU_DEP_2)
	v_fma_f32 v94, v2, v180, -v7
	s_waitcnt vmcnt(0)
	v_dual_fmac_f32 v95, v3, v180 :: v_dual_mul_f32 v2, v5, v185
	v_mul_f32_e32 v97, v4, v185
	s_delay_alu instid0(VALU_DEP_2) | instskip(NEXT) | instid1(VALU_DEP_2)
	v_fma_f32 v96, v4, v184, -v2
	v_fmac_f32_e32 v97, v5, v184
	ds_load_2addr_b64 v[2:5], v68 offset0:120 offset1:183
	s_waitcnt lgkmcnt(0)
	v_mul_f32_e32 v6, v5, v145
	v_mul_f32_e32 v14, v4, v145
	s_delay_alu instid0(VALU_DEP_2) | instskip(NEXT) | instid1(VALU_DEP_2)
	v_fma_f32 v19, v4, v144, -v6
	v_fmac_f32_e32 v14, v5, v144
	ds_load_2addr_b64 v[4:7], v255 offset1:63
	v_dual_sub_f32 v99, v19, v12 :: v_dual_sub_f32 v98, v14, v13
	s_waitcnt lgkmcnt(0)
	v_dual_add_f32 v20, v14, v13 :: v_dual_add_f32 v15, v5, v14
	s_delay_alu instid0(VALU_DEP_1) | instskip(NEXT) | instid1(VALU_DEP_2)
	v_fma_f32 v5, -0.5, v20, v5
	v_add_f32_e32 v15, v15, v13
	s_delay_alu instid0(VALU_DEP_2) | instskip(NEXT) | instid1(VALU_DEP_1)
	v_dual_add_f32 v13, v4, v19 :: v_dual_fmamk_f32 v30, v99, 0xbf5db3d7, v5
	v_dual_fmac_f32 v5, 0x3f5db3d7, v99 :: v_dual_add_f32 v14, v13, v12
	v_add_f32_e32 v13, v19, v12
	s_delay_alu instid0(VALU_DEP_1)
	v_fma_f32 v4, -0.5, v13, v4
	ds_load_b64 v[31:32], v255 offset:13104
	ds_load_2addr_b64 v[10:13], v255 offset0:126 offset1:189
	ds_load_2addr_b64 v[19:22], v69 offset0:124 offset1:187
	ds_load_2addr_b64 v[25:28], v221 offset0:122 offset1:185
	s_waitcnt lgkmcnt(0)
	s_barrier
	buffer_gl0_inv
	v_fmamk_f32 v29, v98, 0x3f5db3d7, v4
	v_fmac_f32_e32 v4, 0xbf5db3d7, v98
	ds_store_2addr_b64 v100, v[14:15], v[29:30] offset1:3
	v_add_f32_e32 v14, v51, v35
	ds_store_b64 v100, v[4:5] offset:48
	v_add_f32_e32 v4, v7, v51
	v_add_f32_e32 v15, v47, v34
	v_sub_f32_e32 v29, v51, v35
	v_dual_fmac_f32 v7, -0.5, v14 :: v_dual_and_b32 v14, 0xffff, v23
	s_delay_alu instid0(VALU_DEP_4) | instskip(SKIP_4) | instid1(VALU_DEP_3)
	v_add_f32_e32 v5, v4, v35
	v_add_f32_e32 v4, v6, v47
	v_sub_f32_e32 v30, v47, v34
	v_fma_f32 v6, -0.5, v15, v6
	v_mul_u32_u24_e32 v14, 9, v14
	v_fmamk_f32 v15, v30, 0xbf5db3d7, v7
	v_fmac_f32_e32 v7, 0x3f5db3d7, v30
	s_delay_alu instid0(VALU_DEP_3)
	v_add_lshl_u32 v23, v14, v33, 3
	v_fmamk_f32 v14, v29, 0x3f5db3d7, v6
	v_fmac_f32_e32 v6, 0xbf5db3d7, v29
	scratch_store_b32 off, v23, off offset:456 ; 4-byte Folded Spill
	ds_store_b64 v23, v[6:7] offset:48
	v_dual_add_f32 v7, v53, v57 :: v_dual_add_f32 v6, v52, v56
	s_delay_alu instid0(VALU_DEP_1) | instskip(SKIP_1) | instid1(VALU_DEP_3)
	v_fma_f32 v7, -0.5, v7, v11
	v_add_f32_e32 v4, v4, v34
	v_fma_f32 v6, -0.5, v6, v10
	ds_store_2addr_b64 v23, v[4:5], v[14:15] offset1:3
	v_add_f32_e32 v4, v11, v53
	v_dual_sub_f32 v14, v53, v57 :: v_dual_sub_f32 v15, v52, v56
	s_delay_alu instid0(VALU_DEP_2) | instskip(SKIP_1) | instid1(VALU_DEP_3)
	v_dual_add_f32 v5, v4, v57 :: v_dual_add_f32 v4, v10, v52
	v_and_b32_e32 v10, 0xffff, v36
	v_fmamk_f32 v11, v15, 0xbf5db3d7, v7
	s_delay_alu instid0(VALU_DEP_3) | instskip(NEXT) | instid1(VALU_DEP_3)
	v_dual_fmac_f32 v7, 0x3f5db3d7, v15 :: v_dual_add_f32 v4, v4, v56
	v_mul_u32_u24_e32 v10, 9, v10
	s_delay_alu instid0(VALU_DEP_1)
	v_add_lshl_u32 v23, v10, v38, 3
	v_fmamk_f32 v10, v14, 0x3f5db3d7, v6
	v_fmac_f32_e32 v6, 0xbf5db3d7, v14
	ds_store_2addr_b64 v23, v[4:5], v[10:11] offset1:3
	ds_store_b64 v23, v[6:7] offset:48
	v_add_f32_e32 v6, v72, v59
	v_dual_add_f32 v4, v13, v72 :: v_dual_add_f32 v7, v71, v58
	v_dual_sub_f32 v10, v72, v59 :: v_dual_sub_f32 v11, v71, v58
	s_delay_alu instid0(VALU_DEP_3) | instskip(NEXT) | instid1(VALU_DEP_3)
	v_dual_fmac_f32 v13, -0.5, v6 :: v_dual_and_b32 v6, 0xffff, v37
	v_add_f32_e32 v5, v4, v59
	v_add_f32_e32 v4, v12, v71
	v_fma_f32 v12, -0.5, v7, v12
	s_delay_alu instid0(VALU_DEP_4) | instskip(SKIP_1) | instid1(VALU_DEP_4)
	v_fmamk_f32 v7, v11, 0xbf5db3d7, v13
	v_mul_u32_u24_e32 v6, 9, v6
	v_dual_fmac_f32 v13, 0x3f5db3d7, v11 :: v_dual_add_f32 v4, v4, v58
	s_delay_alu instid0(VALU_DEP_2)
	v_add_lshl_u32 v14, v6, v39, 3
	v_fmamk_f32 v6, v10, 0x3f5db3d7, v12
	v_fmac_f32_e32 v12, 0xbf5db3d7, v10
	v_mad_u16 v10, v64, 9, v66
	scratch_store_b32 off, v14, off offset:444 ; 4-byte Folded Spill
	ds_store_2addr_b64 v14, v[4:5], v[6:7] offset1:3
	v_add_f32_e32 v7, v74, v77
	ds_store_b64 v14, v[12:13] offset:48
	v_add_f32_e32 v6, v73, v75
	v_dual_sub_f32 v13, v73, v75 :: v_dual_sub_f32 v12, v74, v77
	v_fma_f32 v7, -0.5, v7, v20
	v_and_b32_e32 v10, 0xffff, v10
	s_delay_alu instid0(VALU_DEP_4) | instskip(NEXT) | instid1(VALU_DEP_3)
	v_fma_f32 v6, -0.5, v6, v19
	v_fmamk_f32 v11, v13, 0xbf5db3d7, v7
	v_fmac_f32_e32 v7, 0x3f5db3d7, v13
	v_dual_sub_f32 v13, v86, v88 :: v_dual_add_f32 v4, v20, v74
	v_lshlrev_b32_e32 v14, 3, v10
	v_fmamk_f32 v10, v12, 0x3f5db3d7, v6
	v_fmac_f32_e32 v6, 0xbf5db3d7, v12
	v_sub_f32_e32 v12, v84, v78
	v_add_f32_e32 v5, v4, v77
	v_add_f32_e32 v4, v19, v73
	ds_store_b64 v14, v[6:7] offset:48
	v_mad_u16 v6, v65, 9, v67
	v_add_f32_e32 v7, v85, v79
	v_add_f32_e32 v4, v4, v75
	s_delay_alu instid0(VALU_DEP_3) | instskip(SKIP_4) | instid1(VALU_DEP_3)
	v_and_b32_e32 v6, 0xffff, v6
	ds_store_2addr_b64 v14, v[4:5], v[10:11] offset1:3
	v_dual_add_f32 v4, v22, v85 :: v_dual_add_f32 v11, v84, v78
	v_sub_f32_e32 v10, v85, v79
	v_fmac_f32_e32 v22, -0.5, v7
	v_dual_add_f32 v5, v4, v79 :: v_dual_add_f32 v4, v21, v84
	s_delay_alu instid0(VALU_DEP_4) | instskip(SKIP_1) | instid1(VALU_DEP_4)
	v_fma_f32 v21, -0.5, v11, v21
	v_lshlrev_b32_e32 v11, 3, v6
	v_fmamk_f32 v7, v12, 0xbf5db3d7, v22
	v_fmac_f32_e32 v22, 0x3f5db3d7, v12
	v_add_f32_e32 v4, v4, v78
	v_fmamk_f32 v6, v10, 0x3f5db3d7, v21
	v_fmac_f32_e32 v21, 0xbf5db3d7, v10
	v_mad_u16 v10, v80, 9, v82
	v_sub_f32_e32 v12, v87, v89
	s_clause 0x1
	scratch_store_b32 off, v14, off offset:440
	scratch_store_b32 off, v11, off offset:436
	ds_store_2addr_b64 v11, v[4:5], v[6:7] offset1:3
	v_dual_add_f32 v4, v26, v87 :: v_dual_add_f32 v7, v87, v89
	v_add_f32_e32 v6, v86, v88
	v_and_b32_e32 v10, 0xffff, v10
	ds_store_b64 v11, v[21:22] offset:48
	v_dual_add_f32 v5, v4, v89 :: v_dual_add_f32 v4, v25, v86
	v_fma_f32 v6, -0.5, v6, v25
	v_fma_f32 v7, -0.5, v7, v26
	v_lshlrev_b32_e32 v14, 3, v10
	s_delay_alu instid0(VALU_DEP_4) | instskip(NEXT) | instid1(VALU_DEP_4)
	v_add_f32_e32 v4, v4, v88
	v_fmamk_f32 v10, v12, 0x3f5db3d7, v6
	s_delay_alu instid0(VALU_DEP_4)
	v_dual_fmamk_f32 v11, v13, 0xbf5db3d7, v7 :: v_dual_fmac_f32 v6, 0xbf5db3d7, v12
	v_dual_fmac_f32 v7, 0x3f5db3d7, v13 :: v_dual_sub_f32 v12, v94, v90
	ds_store_2addr_b64 v14, v[4:5], v[10:11] offset1:3
	v_add_f32_e32 v4, v28, v95
	ds_store_b64 v14, v[6:7] offset:48
	v_mad_u16 v6, v81, 9, v83
	v_add_f32_e32 v7, v95, v91
	v_dual_add_f32 v11, v94, v90 :: v_dual_sub_f32 v10, v95, v91
	v_dual_add_f32 v5, v4, v91 :: v_dual_add_f32 v4, v27, v94
	s_delay_alu instid0(VALU_DEP_3) | instskip(NEXT) | instid1(VALU_DEP_3)
	v_fmac_f32_e32 v28, -0.5, v7
	v_fma_f32 v27, -0.5, v11, v27
	v_and_b32_e32 v6, 0xffff, v6
	s_delay_alu instid0(VALU_DEP_4) | instskip(NEXT) | instid1(VALU_DEP_4)
	v_add_f32_e32 v4, v4, v90
	v_fmamk_f32 v7, v12, 0xbf5db3d7, v28
	s_delay_alu instid0(VALU_DEP_3)
	v_dual_fmac_f32 v28, 0x3f5db3d7, v12 :: v_dual_lshlrev_b32 v11, 3, v6
	v_fmamk_f32 v6, v10, 0x3f5db3d7, v27
	v_fmac_f32_e32 v27, 0xbf5db3d7, v10
	s_clause 0x2
	scratch_store_b32 off, v23, off offset:452
	scratch_store_b32 off, v14, off offset:432
	;; [unrolled: 1-line block ×3, first 2 shown]
	ds_store_2addr_b64 v11, v[4:5], v[6:7] offset1:3
	v_dual_mul_f32 v4, v32, v187 :: v_dual_add_f32 v5, v3, v97
	ds_store_b64 v11, v[27:28] offset:48
	v_mad_u16 v7, v92, 9, v93
	v_fma_f32 v6, v31, v186, -v4
	v_mul_f32_e32 v4, v31, v187
	s_delay_alu instid0(VALU_DEP_2) | instskip(NEXT) | instid1(VALU_DEP_2)
	v_add_f32_e32 v12, v96, v6
	v_fmac_f32_e32 v4, v32, v186
	s_delay_alu instid0(VALU_DEP_1) | instskip(SKIP_4) | instid1(VALU_DEP_2)
	v_dual_sub_f32 v13, v96, v6 :: v_dual_sub_f32 v10, v97, v4
	v_add_f32_e32 v11, v97, v4
	v_add_f32_e32 v5, v5, v4
	;; [unrolled: 1-line block ×3, first 2 shown]
	v_fma_f32 v2, -0.5, v12, v2
	v_dual_fmac_f32 v3, -0.5, v11 :: v_dual_add_f32 v4, v4, v6
	v_and_b32_e32 v6, 0xffff, v7
	s_delay_alu instid0(VALU_DEP_2) | instskip(SKIP_1) | instid1(VALU_DEP_3)
	v_fmamk_f32 v7, v13, 0xbf5db3d7, v3
	v_fmac_f32_e32 v3, 0x3f5db3d7, v13
	v_dual_fmamk_f32 v6, v10, 0x3f5db3d7, v2 :: v_dual_lshlrev_b32 v11, 3, v6
	v_fmac_f32_e32 v2, 0xbf5db3d7, v10
	s_clause 0x1
	scratch_store_b32 off, v100, off offset:448
	scratch_store_b32 off, v11, off offset:428
	ds_store_2addr_b64 v11, v[4:5], v[6:7] offset1:3
	ds_store_b64 v11, v[2:3] offset:48
	v_mul_lo_u16 v2, v0, 57
	s_waitcnt lgkmcnt(0)
	s_waitcnt_vscnt null, 0x0
	s_barrier
	buffer_gl0_inv
	v_mul_lo_u16 v0, v0, 19
	v_lshrrev_b16 v12, 9, v2
	v_mul_lo_u16 v2, v1, 57
	v_mul_lo_u16 v1, v1, 19
	s_delay_alu instid0(VALU_DEP_2) | instskip(NEXT) | instid1(VALU_DEP_4)
	v_lshrrev_b16 v23, 9, v2
	v_mul_lo_u16 v2, v12, 9
	s_delay_alu instid0(VALU_DEP_2) | instskip(NEXT) | instid1(VALU_DEP_2)
	v_mul_lo_u16 v3, v23, 9
	v_sub_nc_u16 v2, v54, v2
	s_delay_alu instid0(VALU_DEP_2) | instskip(NEXT) | instid1(VALU_DEP_2)
	v_sub_nc_u16 v3, v49, v3
	v_and_b32_e32 v13, 0xff, v2
	s_delay_alu instid0(VALU_DEP_2) | instskip(NEXT) | instid1(VALU_DEP_2)
	v_and_b32_e32 v33, 0xff, v3
	v_lshlrev_b32_e32 v2, 4, v13
	s_delay_alu instid0(VALU_DEP_2)
	v_lshlrev_b32_e32 v3, 4, v33
	s_clause 0x1
	global_load_b128 v[104:107], v2, s[10:11] offset:48
	global_load_b128 v[108:111], v3, s[10:11] offset:48
	ds_load_2addr_b64 v[2:5], v60 offset0:110 offset1:173
	s_waitcnt vmcnt(1) lgkmcnt(0)
	v_mul_f32_e32 v6, v3, v107
	v_mul_f32_e32 v14, v2, v107
	s_waitcnt vmcnt(0)
	v_mul_f32_e32 v35, v4, v111
	s_delay_alu instid0(VALU_DEP_3) | instskip(NEXT) | instid1(VALU_DEP_3)
	v_fma_f32 v19, v2, v106, -v6
	v_fmac_f32_e32 v14, v3, v106
	v_mul_f32_e32 v2, v5, v111
	s_delay_alu instid0(VALU_DEP_4) | instskip(NEXT) | instid1(VALU_DEP_2)
	v_fmac_f32_e32 v35, v5, v110
	v_fma_f32 v34, v4, v110, -v2
	v_mul_lo_u16 v2, v9, 57
	s_delay_alu instid0(VALU_DEP_1) | instskip(SKIP_1) | instid1(VALU_DEP_1)
	v_lshrrev_b16 v36, 9, v2
	v_mul_lo_u16 v2, v8, 57
	v_lshrrev_b16 v37, 9, v2
	s_delay_alu instid0(VALU_DEP_3) | instskip(NEXT) | instid1(VALU_DEP_2)
	v_mul_lo_u16 v2, v36, 9
	v_mul_lo_u16 v3, v37, 9
	s_delay_alu instid0(VALU_DEP_2) | instskip(NEXT) | instid1(VALU_DEP_2)
	v_sub_nc_u16 v2, v46, v2
	v_sub_nc_u16 v3, v247, v3
	s_delay_alu instid0(VALU_DEP_2) | instskip(NEXT) | instid1(VALU_DEP_2)
	v_and_b32_e32 v38, 0xff, v2
	v_and_b32_e32 v39, 0xff, v3
	ds_load_2addr_b64 v[2:5], v55 offset0:118 offset1:181
	s_waitcnt lgkmcnt(0)
	v_mul_f32_e32 v6, v3, v109
	v_mul_f32_e32 v51, v2, v109
	s_delay_alu instid0(VALU_DEP_2) | instskip(NEXT) | instid1(VALU_DEP_2)
	v_fma_f32 v47, v2, v108, -v6
	v_dual_fmac_f32 v51, v3, v108 :: v_dual_lshlrev_b32 v2, 4, v38
	v_lshlrev_b32_e32 v3, 4, v39
	s_clause 0x1
	global_load_b128 v[112:115], v2, s[10:11] offset:48
	global_load_b128 v[116:119], v3, s[10:11] offset:48
	s_waitcnt vmcnt(1)
	v_mul_f32_e32 v2, v5, v113
	v_mul_f32_e32 v53, v4, v113
	s_delay_alu instid0(VALU_DEP_2) | instskip(NEXT) | instid1(VALU_DEP_2)
	v_fma_f32 v52, v4, v112, -v2
	v_fmac_f32_e32 v53, v5, v112
	ds_load_2addr_b64 v[2:5], v76 offset0:108 offset1:171
	s_waitcnt lgkmcnt(0)
	v_mul_f32_e32 v6, v3, v115
	v_mul_f32_e32 v57, v2, v115
	s_waitcnt vmcnt(0)
	v_mul_f32_e32 v59, v4, v119
	s_delay_alu instid0(VALU_DEP_3) | instskip(NEXT) | instid1(VALU_DEP_3)
	v_fma_f32 v56, v2, v114, -v6
	v_dual_mul_f32 v2, v5, v119 :: v_dual_fmac_f32 v57, v3, v114
	s_delay_alu instid0(VALU_DEP_3) | instskip(NEXT) | instid1(VALU_DEP_2)
	v_fmac_f32_e32 v59, v5, v118
	v_fma_f32 v58, v4, v118, -v2
	v_mul_u32_u24_e32 v2, 0xe38f, v18
	s_delay_alu instid0(VALU_DEP_1) | instskip(SKIP_1) | instid1(VALU_DEP_1)
	v_lshrrev_b32_e32 v64, 19, v2
	v_mul_u32_u24_e32 v2, 0xe38f, v17
	v_lshrrev_b32_e32 v65, 19, v2
	s_delay_alu instid0(VALU_DEP_3) | instskip(NEXT) | instid1(VALU_DEP_1)
	v_mul_lo_u16 v2, v64, 9
	v_sub_nc_u16 v66, v24, v2
	s_delay_alu instid0(VALU_DEP_3) | instskip(NEXT) | instid1(VALU_DEP_1)
	v_mul_lo_u16 v2, v65, 9
	v_sub_nc_u16 v67, v16, v2
	s_delay_alu instid0(VALU_DEP_3) | instskip(NEXT) | instid1(VALU_DEP_2)
	v_lshlrev_b16 v2, 4, v66
	v_lshlrev_b16 v3, 4, v67
	s_delay_alu instid0(VALU_DEP_2) | instskip(NEXT) | instid1(VALU_DEP_2)
	v_and_b32_e32 v2, 0xffff, v2
	v_and_b32_e32 v3, 0xffff, v3
	s_delay_alu instid0(VALU_DEP_2) | instskip(NEXT) | instid1(VALU_DEP_1)
	v_add_co_u32 v6, s2, s10, v2
	v_add_co_ci_u32_e64 v7, null, s11, 0, s2
	s_delay_alu instid0(VALU_DEP_3) | instskip(NEXT) | instid1(VALU_DEP_1)
	v_add_co_u32 v10, s2, s10, v3
	v_add_co_ci_u32_e64 v11, null, s11, 0, s2
	ds_load_2addr_b64 v[2:5], v48 offset0:116 offset1:179
	s_clause 0x1
	global_load_b128 v[120:123], v[6:7], off offset:48
	global_load_b128 v[124:127], v[10:11], off offset:48
	s_waitcnt lgkmcnt(0)
	v_mul_f32_e32 v15, v3, v117
	v_mul_f32_e32 v72, v2, v117
	s_delay_alu instid0(VALU_DEP_2) | instskip(NEXT) | instid1(VALU_DEP_2)
	v_fma_f32 v71, v2, v116, -v15
	v_fmac_f32_e32 v72, v3, v116
	s_waitcnt vmcnt(1)
	v_mul_f32_e32 v2, v5, v121
	v_mul_f32_e32 v74, v4, v121
	s_delay_alu instid0(VALU_DEP_2) | instskip(NEXT) | instid1(VALU_DEP_2)
	v_fma_f32 v73, v4, v120, -v2
	v_fmac_f32_e32 v74, v5, v120
	ds_load_2addr_b64 v[2:5], v61 offset0:106 offset1:169
	s_waitcnt lgkmcnt(0)
	v_mul_f32_e32 v6, v3, v123
	v_mul_f32_e32 v77, v2, v123
	s_waitcnt vmcnt(0)
	v_mul_f32_e32 v79, v4, v127
	s_delay_alu instid0(VALU_DEP_3) | instskip(NEXT) | instid1(VALU_DEP_3)
	v_fma_f32 v75, v2, v122, -v6
	v_dual_mul_f32 v2, v5, v127 :: v_dual_fmac_f32 v77, v3, v122
	s_delay_alu instid0(VALU_DEP_3) | instskip(NEXT) | instid1(VALU_DEP_2)
	v_fmac_f32_e32 v79, v5, v126
	v_fma_f32 v78, v4, v126, -v2
	v_mul_u32_u24_e32 v2, 0xe38f, v44
	s_delay_alu instid0(VALU_DEP_1) | instskip(SKIP_1) | instid1(VALU_DEP_1)
	v_lshrrev_b32_e32 v80, 19, v2
	v_mul_u32_u24_e32 v2, 0xe38f, v43
	v_lshrrev_b32_e32 v81, 19, v2
	s_delay_alu instid0(VALU_DEP_3) | instskip(NEXT) | instid1(VALU_DEP_1)
	v_mul_lo_u16 v2, v80, 9
	v_sub_nc_u16 v82, v40, v2
	s_delay_alu instid0(VALU_DEP_3) | instskip(NEXT) | instid1(VALU_DEP_1)
	v_mul_lo_u16 v2, v81, 9
	v_sub_nc_u16 v83, v41, v2
	s_delay_alu instid0(VALU_DEP_3) | instskip(NEXT) | instid1(VALU_DEP_2)
	v_lshlrev_b16 v2, 4, v82
	v_lshlrev_b16 v3, 4, v83
	s_delay_alu instid0(VALU_DEP_2) | instskip(NEXT) | instid1(VALU_DEP_2)
	v_and_b32_e32 v2, 0xffff, v2
	v_and_b32_e32 v3, 0xffff, v3
	s_delay_alu instid0(VALU_DEP_2) | instskip(NEXT) | instid1(VALU_DEP_1)
	v_add_co_u32 v6, s2, s10, v2
	v_add_co_ci_u32_e64 v7, null, s11, 0, s2
	s_delay_alu instid0(VALU_DEP_3) | instskip(NEXT) | instid1(VALU_DEP_1)
	v_add_co_u32 v10, s2, s10, v3
	v_add_co_ci_u32_e64 v11, null, s11, 0, s2
	ds_load_2addr_b64 v[2:5], v62 offset0:114 offset1:177
	s_clause 0x1
	global_load_b128 v[128:131], v[6:7], off offset:48
	global_load_b128 v[132:135], v[10:11], off offset:48
	s_waitcnt lgkmcnt(0)
	v_mul_f32_e32 v15, v3, v125
	v_mul_f32_e32 v85, v2, v125
	s_delay_alu instid0(VALU_DEP_2) | instskip(SKIP_1) | instid1(VALU_DEP_2)
	v_fma_f32 v84, v2, v124, -v15
	s_waitcnt vmcnt(1)
	v_dual_fmac_f32 v85, v3, v124 :: v_dual_mul_f32 v2, v5, v129
	v_mul_f32_e32 v87, v4, v129
	s_delay_alu instid0(VALU_DEP_2) | instskip(NEXT) | instid1(VALU_DEP_2)
	v_fma_f32 v86, v4, v128, -v2
	v_fmac_f32_e32 v87, v5, v128
	ds_load_2addr_b64 v[2:5], v70 offset0:104 offset1:167
	s_waitcnt lgkmcnt(0)
	v_mul_f32_e32 v6, v3, v131
	v_mul_f32_e32 v89, v2, v131
	s_waitcnt vmcnt(0)
	v_mul_f32_e32 v91, v4, v135
	s_delay_alu instid0(VALU_DEP_3) | instskip(NEXT) | instid1(VALU_DEP_3)
	v_fma_f32 v88, v2, v130, -v6
	v_dual_mul_f32 v2, v5, v135 :: v_dual_fmac_f32 v89, v3, v130
	s_delay_alu instid0(VALU_DEP_3) | instskip(NEXT) | instid1(VALU_DEP_2)
	v_fmac_f32_e32 v91, v5, v134
	v_fma_f32 v90, v4, v134, -v2
	v_mul_u32_u24_e32 v2, 0xe38f, v45
	s_delay_alu instid0(VALU_DEP_1) | instskip(NEXT) | instid1(VALU_DEP_1)
	v_lshrrev_b32_e32 v92, 19, v2
	v_mul_lo_u16 v2, v92, 9
	s_delay_alu instid0(VALU_DEP_1) | instskip(NEXT) | instid1(VALU_DEP_1)
	v_sub_nc_u16 v93, v42, v2
	v_lshlrev_b16 v2, 4, v93
	s_delay_alu instid0(VALU_DEP_1) | instskip(NEXT) | instid1(VALU_DEP_1)
	v_and_b32_e32 v2, 0xffff, v2
	v_add_co_u32 v6, s2, s10, v2
	s_delay_alu instid0(VALU_DEP_1)
	v_add_co_ci_u32_e64 v7, null, s11, 0, s2
	ds_load_2addr_b64 v[2:5], v63 offset0:112 offset1:175
	global_load_b128 v[140:143], v[6:7], off offset:48
	s_waitcnt lgkmcnt(0)
	v_mul_f32_e32 v10, v3, v133
	v_mul_f32_e32 v95, v2, v133
	s_delay_alu instid0(VALU_DEP_2) | instskip(SKIP_1) | instid1(VALU_DEP_2)
	v_fma_f32 v94, v2, v132, -v10
	s_waitcnt vmcnt(0)
	v_dual_fmac_f32 v95, v3, v132 :: v_dual_mul_f32 v2, v5, v141
	v_mul_f32_e32 v97, v4, v141
	s_delay_alu instid0(VALU_DEP_2) | instskip(NEXT) | instid1(VALU_DEP_2)
	v_fma_f32 v96, v4, v140, -v2
	v_fmac_f32_e32 v97, v5, v140
	ds_load_2addr_b64 v[2:5], v68 offset0:120 offset1:183
	s_waitcnt lgkmcnt(0)
	v_mul_f32_e32 v6, v5, v105
	v_mul_f32_e32 v11, v4, v105
	s_delay_alu instid0(VALU_DEP_2) | instskip(NEXT) | instid1(VALU_DEP_2)
	v_fma_f32 v10, v4, v104, -v6
	v_fmac_f32_e32 v11, v5, v104
	ds_load_2addr_b64 v[4:7], v255 offset1:63
	v_dual_sub_f32 v99, v10, v19 :: v_dual_add_f32 v20, v11, v14
	s_waitcnt lgkmcnt(0)
	v_dual_sub_f32 v98, v11, v14 :: v_dual_add_f32 v15, v5, v11
	v_add_f32_e32 v11, v4, v10
	s_delay_alu instid0(VALU_DEP_3) | instskip(NEXT) | instid1(VALU_DEP_3)
	v_fma_f32 v5, -0.5, v20, v5
	v_add_f32_e32 v15, v15, v14
	s_delay_alu instid0(VALU_DEP_3) | instskip(SKIP_4) | instid1(VALU_DEP_4)
	v_add_f32_e32 v14, v11, v19
	v_add_f32_e32 v11, v10, v19
	v_mul_lo_u16 v10, v12, 27
	v_fmamk_f32 v30, v99, 0xbf5db3d7, v5
	v_fmac_f32_e32 v5, 0x3f5db3d7, v99
	v_fma_f32 v4, -0.5, v11, v4
	s_delay_alu instid0(VALU_DEP_4) | instskip(NEXT) | instid1(VALU_DEP_2)
	v_and_b32_e32 v10, 0xff, v10
	v_fmamk_f32 v29, v98, 0x3f5db3d7, v4
	s_delay_alu instid0(VALU_DEP_2)
	v_add_lshl_u32 v100, v10, v13, 3
	ds_load_b64 v[31:32], v255 offset:13104
	ds_load_2addr_b64 v[10:13], v255 offset0:126 offset1:189
	ds_load_2addr_b64 v[19:22], v69 offset0:124 offset1:187
	;; [unrolled: 1-line block ×3, first 2 shown]
	s_waitcnt lgkmcnt(0)
	s_barrier
	buffer_gl0_inv
	ds_store_2addr_b64 v100, v[14:15], v[29:30] offset1:9
	v_fmac_f32_e32 v4, 0xbf5db3d7, v98
	v_add_f32_e32 v14, v51, v35
	v_add_f32_e32 v15, v47, v34
	v_sub_f32_e32 v29, v51, v35
	v_sub_f32_e32 v30, v47, v34
	ds_store_b64 v100, v[4:5] offset:144
	v_dual_add_f32 v4, v7, v51 :: v_dual_fmac_f32 v7, -0.5, v14
	v_and_b32_e32 v14, 0xffff, v23
	s_delay_alu instid0(VALU_DEP_2) | instskip(SKIP_2) | instid1(VALU_DEP_4)
	v_add_f32_e32 v5, v4, v35
	v_add_f32_e32 v4, v6, v47
	v_fma_f32 v6, -0.5, v15, v6
	v_mul_u32_u24_e32 v14, 27, v14
	v_fmamk_f32 v15, v30, 0xbf5db3d7, v7
	v_fmac_f32_e32 v7, 0x3f5db3d7, v30
	v_add_f32_e32 v4, v4, v34
	s_delay_alu instid0(VALU_DEP_4)
	v_add_lshl_u32 v23, v14, v33, 3
	v_fmamk_f32 v14, v29, 0x3f5db3d7, v6
	v_fmac_f32_e32 v6, 0xbf5db3d7, v29
	scratch_store_b32 off, v23, off offset:404 ; 4-byte Folded Spill
	ds_store_2addr_b64 v23, v[4:5], v[14:15] offset1:9
	ds_store_b64 v23, v[6:7] offset:144
	v_add_f32_e32 v4, v11, v53
	v_dual_add_f32 v6, v52, v56 :: v_dual_add_f32 v7, v53, v57
	v_dual_sub_f32 v14, v53, v57 :: v_dual_sub_f32 v15, v52, v56
	s_delay_alu instid0(VALU_DEP_3) | instskip(NEXT) | instid1(VALU_DEP_3)
	v_dual_add_f32 v5, v4, v57 :: v_dual_add_f32 v4, v10, v52
	v_fma_f32 v6, -0.5, v6, v10
	v_and_b32_e32 v10, 0xffff, v36
	v_fma_f32 v7, -0.5, v7, v11
	s_delay_alu instid0(VALU_DEP_4) | instskip(NEXT) | instid1(VALU_DEP_3)
	v_add_f32_e32 v4, v4, v56
	v_mul_u32_u24_e32 v10, 27, v10
	s_delay_alu instid0(VALU_DEP_3) | instskip(SKIP_1) | instid1(VALU_DEP_3)
	v_fmamk_f32 v11, v15, 0xbf5db3d7, v7
	v_fmac_f32_e32 v7, 0x3f5db3d7, v15
	v_add_lshl_u32 v23, v10, v38, 3
	v_fmamk_f32 v10, v14, 0x3f5db3d7, v6
	v_fmac_f32_e32 v6, 0xbf5db3d7, v14
	ds_store_2addr_b64 v23, v[4:5], v[10:11] offset1:9
	ds_store_b64 v23, v[6:7] offset:144
	v_add_f32_e32 v6, v72, v59
	v_dual_add_f32 v4, v13, v72 :: v_dual_add_f32 v7, v71, v58
	v_dual_sub_f32 v10, v72, v59 :: v_dual_sub_f32 v11, v71, v58
	s_delay_alu instid0(VALU_DEP_3) | instskip(NEXT) | instid1(VALU_DEP_3)
	v_dual_fmac_f32 v13, -0.5, v6 :: v_dual_and_b32 v6, 0xffff, v37
	v_add_f32_e32 v5, v4, v59
	v_add_f32_e32 v4, v12, v71
	v_fma_f32 v12, -0.5, v7, v12
	s_delay_alu instid0(VALU_DEP_4) | instskip(SKIP_1) | instid1(VALU_DEP_4)
	v_fmamk_f32 v7, v11, 0xbf5db3d7, v13
	v_mul_u32_u24_e32 v6, 27, v6
	v_dual_fmac_f32 v13, 0x3f5db3d7, v11 :: v_dual_add_f32 v4, v4, v58
	s_delay_alu instid0(VALU_DEP_2)
	v_add_lshl_u32 v14, v6, v39, 3
	v_fmamk_f32 v6, v10, 0x3f5db3d7, v12
	v_fmac_f32_e32 v12, 0xbf5db3d7, v10
	v_mad_u16 v10, v64, 27, v66
	scratch_store_b32 off, v14, off offset:392 ; 4-byte Folded Spill
	ds_store_2addr_b64 v14, v[4:5], v[6:7] offset1:9
	v_add_f32_e32 v4, v20, v74
	v_dual_add_f32 v6, v73, v75 :: v_dual_add_f32 v7, v74, v77
	ds_store_b64 v14, v[12:13] offset:144
	v_sub_f32_e32 v12, v74, v77
	v_add_f32_e32 v5, v4, v77
	v_add_f32_e32 v4, v19, v73
	v_fma_f32 v6, -0.5, v6, v19
	v_lshrrev_b16 v19, 9, v1
	v_sub_f32_e32 v13, v73, v75
	v_fma_f32 v7, -0.5, v7, v20
	v_and_b32_e32 v10, 0xffff, v10
	s_delay_alu instid0(VALU_DEP_4) | instskip(NEXT) | instid1(VALU_DEP_2)
	v_mul_lo_u16 v1, v19, 27
	v_dual_fmamk_f32 v11, v13, 0xbf5db3d7, v7 :: v_dual_lshlrev_b32 v14, 3, v10
	v_fmamk_f32 v10, v12, 0x3f5db3d7, v6
	v_fmac_f32_e32 v6, 0xbf5db3d7, v12
	v_fmac_f32_e32 v7, 0x3f5db3d7, v13
	v_sub_nc_u16 v1, v49, v1
	v_add_f32_e32 v4, v4, v75
	v_dual_sub_f32 v12, v84, v78 :: v_dual_sub_f32 v13, v86, v88
	ds_store_b64 v14, v[6:7] offset:144
	v_mad_u16 v6, v65, 27, v67
	ds_store_2addr_b64 v14, v[4:5], v[10:11] offset1:9
	v_dual_add_f32 v4, v22, v85 :: v_dual_add_f32 v7, v85, v79
	v_dual_add_f32 v11, v84, v78 :: v_dual_sub_f32 v10, v85, v79
	s_delay_alu instid0(VALU_DEP_2) | instskip(SKIP_1) | instid1(VALU_DEP_3)
	v_dual_add_f32 v5, v4, v79 :: v_dual_and_b32 v6, 0xffff, v6
	v_add_f32_e32 v4, v21, v84
	v_fma_f32 v21, -0.5, v11, v21
	s_delay_alu instid0(VALU_DEP_3)
	v_dual_fmac_f32 v22, -0.5, v7 :: v_dual_lshlrev_b32 v11, 3, v6
	scratch_store_b32 off, v14, off offset:388 ; 4-byte Folded Spill
	v_add_f32_e32 v4, v4, v78
	v_fmamk_f32 v6, v10, 0x3f5db3d7, v21
	v_fmamk_f32 v7, v12, 0xbf5db3d7, v22
	v_fmac_f32_e32 v21, 0xbf5db3d7, v10
	v_mad_u16 v10, v80, 27, v82
	v_fmac_f32_e32 v22, 0x3f5db3d7, v12
	v_sub_f32_e32 v12, v87, v89
	ds_store_2addr_b64 v11, v[4:5], v[6:7] offset1:9
	v_dual_add_f32 v4, v26, v87 :: v_dual_add_f32 v7, v87, v89
	v_add_f32_e32 v6, v86, v88
	v_and_b32_e32 v10, 0xffff, v10
	scratch_store_b32 off, v11, off offset:384 ; 4-byte Folded Spill
	v_dual_add_f32 v5, v4, v89 :: v_dual_add_f32 v4, v25, v86
	v_fma_f32 v6, -0.5, v6, v25
	v_fma_f32 v7, -0.5, v7, v26
	ds_store_b64 v11, v[21:22] offset:144
	v_lshlrev_b32_e32 v14, 3, v10
	v_add_f32_e32 v4, v4, v88
	v_fmamk_f32 v10, v12, 0x3f5db3d7, v6
	v_dual_fmamk_f32 v11, v13, 0xbf5db3d7, v7 :: v_dual_fmac_f32 v6, 0xbf5db3d7, v12
	v_dual_fmac_f32 v7, 0x3f5db3d7, v13 :: v_dual_sub_f32 v12, v94, v90
	ds_store_2addr_b64 v14, v[4:5], v[10:11] offset1:9
	v_add_f32_e32 v4, v28, v95
	ds_store_b64 v14, v[6:7] offset:144
	v_mad_u16 v6, v81, 27, v83
	v_add_f32_e32 v7, v95, v91
	v_dual_add_f32 v11, v94, v90 :: v_dual_sub_f32 v10, v95, v91
	v_dual_add_f32 v5, v4, v91 :: v_dual_add_f32 v4, v27, v94
	s_delay_alu instid0(VALU_DEP_3) | instskip(NEXT) | instid1(VALU_DEP_3)
	v_fmac_f32_e32 v28, -0.5, v7
	v_fma_f32 v27, -0.5, v11, v27
	v_and_b32_e32 v6, 0xffff, v6
	s_delay_alu instid0(VALU_DEP_4) | instskip(NEXT) | instid1(VALU_DEP_4)
	v_add_f32_e32 v4, v4, v90
	v_fmamk_f32 v7, v12, 0xbf5db3d7, v28
	s_delay_alu instid0(VALU_DEP_3)
	v_dual_fmac_f32 v28, 0x3f5db3d7, v12 :: v_dual_lshlrev_b32 v11, 3, v6
	v_fmamk_f32 v6, v10, 0x3f5db3d7, v27
	v_fmac_f32_e32 v27, 0xbf5db3d7, v10
	s_clause 0x2
	scratch_store_b32 off, v23, off offset:400
	scratch_store_b32 off, v14, off offset:380
	;; [unrolled: 1-line block ×3, first 2 shown]
	ds_store_2addr_b64 v11, v[4:5], v[6:7] offset1:9
	v_dual_mul_f32 v4, v32, v143 :: v_dual_add_f32 v5, v3, v97
	ds_store_b64 v11, v[27:28] offset:144
	v_mad_u16 v7, v92, 27, v93
	v_and_b32_e32 v27, 0xff, v1
	v_fma_f32 v6, v31, v142, -v4
	v_mul_f32_e32 v4, v31, v143
	s_delay_alu instid0(VALU_DEP_2) | instskip(NEXT) | instid1(VALU_DEP_2)
	v_dual_add_f32 v12, v96, v6 :: v_dual_lshlrev_b32 v1, 4, v27
	v_fmac_f32_e32 v4, v32, v142
	s_delay_alu instid0(VALU_DEP_1) | instskip(SKIP_4) | instid1(VALU_DEP_2)
	v_dual_sub_f32 v13, v96, v6 :: v_dual_sub_f32 v10, v97, v4
	v_add_f32_e32 v11, v97, v4
	v_add_f32_e32 v5, v5, v4
	;; [unrolled: 1-line block ×3, first 2 shown]
	v_fma_f32 v2, -0.5, v12, v2
	v_dual_fmac_f32 v3, -0.5, v11 :: v_dual_add_f32 v4, v4, v6
	v_and_b32_e32 v6, 0xffff, v7
	s_delay_alu instid0(VALU_DEP_2) | instskip(SKIP_1) | instid1(VALU_DEP_3)
	v_fmamk_f32 v7, v13, 0xbf5db3d7, v3
	v_fmac_f32_e32 v3, 0x3f5db3d7, v13
	v_dual_fmamk_f32 v6, v10, 0x3f5db3d7, v2 :: v_dual_lshlrev_b32 v11, 3, v6
	v_fmac_f32_e32 v2, 0xbf5db3d7, v10
	v_lshrrev_b16 v10, 9, v0
	s_clause 0x1
	scratch_store_b32 off, v100, off offset:396
	scratch_store_b32 off, v11, off offset:376
	ds_store_2addr_b64 v11, v[4:5], v[6:7] offset1:9
	ds_store_b64 v11, v[2:3] offset:144
	v_mul_lo_u16 v0, v10, 27
	s_waitcnt lgkmcnt(0)
	s_waitcnt_vscnt null, 0x0
	s_barrier
	buffer_gl0_inv
	v_mul_lo_u16 v10, 0x51, v10
	v_sub_nc_u16 v0, v54, v0
	s_delay_alu instid0(VALU_DEP_1) | instskip(NEXT) | instid1(VALU_DEP_1)
	v_and_b32_e32 v11, 0xff, v0
	v_lshlrev_b32_e32 v0, 4, v11
	s_clause 0x1
	global_load_b128 v[20:23], v0, s[10:11] offset:192
	global_load_b128 v[28:31], v1, s[10:11] offset:192
	ds_load_2addr_b64 v[0:3], v60 offset0:110 offset1:173
	s_waitcnt vmcnt(1) lgkmcnt(0)
	v_mul_f32_e32 v4, v1, v23
	v_mul_f32_e32 v13, v0, v23
	s_waitcnt vmcnt(0)
	v_mul_f32_e32 v51, v2, v31
	s_delay_alu instid0(VALU_DEP_3) | instskip(NEXT) | instid1(VALU_DEP_3)
	v_fma_f32 v12, v0, v22, -v4
	v_dual_mul_f32 v0, v3, v31 :: v_dual_fmac_f32 v13, v1, v22
	s_delay_alu instid0(VALU_DEP_3) | instskip(NEXT) | instid1(VALU_DEP_2)
	v_fmac_f32_e32 v51, v3, v30
	v_fma_f32 v47, v2, v30, -v0
	v_mul_lo_u16 v0, v9, 19
	v_mul_lo_u16 v9, 0xcb, v9
	s_delay_alu instid0(VALU_DEP_2) | instskip(SKIP_2) | instid1(VALU_DEP_2)
	v_lshrrev_b16 v52, 9, v0
	v_mul_lo_u16 v0, v8, 19
	v_mul_lo_u16 v8, 0xcb, v8
	v_lshrrev_b16 v53, 9, v0
	s_delay_alu instid0(VALU_DEP_4) | instskip(NEXT) | instid1(VALU_DEP_2)
	v_mul_lo_u16 v0, v52, 27
	v_mul_lo_u16 v1, v53, 27
	s_delay_alu instid0(VALU_DEP_2) | instskip(NEXT) | instid1(VALU_DEP_2)
	v_sub_nc_u16 v0, v46, v0
	v_sub_nc_u16 v1, v247, v1
	s_delay_alu instid0(VALU_DEP_2) | instskip(NEXT) | instid1(VALU_DEP_2)
	v_and_b32_e32 v75, 0xff, v0
	v_and_b32_e32 v81, 0xff, v1
	ds_load_2addr_b64 v[0:3], v55 offset0:118 offset1:181
	s_waitcnt lgkmcnt(0)
	v_mul_f32_e32 v4, v1, v29
	v_mul_f32_e32 v83, v0, v29
	s_delay_alu instid0(VALU_DEP_2) | instskip(NEXT) | instid1(VALU_DEP_2)
	v_fma_f32 v82, v0, v28, -v4
	v_dual_fmac_f32 v83, v1, v28 :: v_dual_lshlrev_b32 v0, 4, v75
	v_lshlrev_b32_e32 v1, 4, v81
	s_clause 0x1
	global_load_b128 v[32:35], v0, s[10:11] offset:192
	global_load_b128 v[36:39], v1, s[10:11] offset:192
	s_waitcnt vmcnt(1)
	v_mul_f32_e32 v0, v3, v33
	v_mul_f32_e32 v85, v2, v33
	s_delay_alu instid0(VALU_DEP_2) | instskip(NEXT) | instid1(VALU_DEP_2)
	v_fma_f32 v84, v2, v32, -v0
	v_fmac_f32_e32 v85, v3, v32
	ds_load_2addr_b64 v[0:3], v76 offset0:108 offset1:171
	s_waitcnt lgkmcnt(0)
	v_mul_f32_e32 v4, v1, v35
	v_mul_f32_e32 v87, v0, v35
	s_waitcnt vmcnt(0)
	v_mul_f32_e32 v89, v2, v39
	s_delay_alu instid0(VALU_DEP_3) | instskip(NEXT) | instid1(VALU_DEP_3)
	v_fma_f32 v86, v0, v34, -v4
	v_dual_mul_f32 v0, v3, v39 :: v_dual_fmac_f32 v87, v1, v34
	s_delay_alu instid0(VALU_DEP_3) | instskip(NEXT) | instid1(VALU_DEP_2)
	v_fmac_f32_e32 v89, v3, v38
	v_fma_f32 v88, v2, v38, -v0
	v_mul_u32_u24_e32 v0, 0x2f69, v18
	v_mul_u32_u24_e32 v18, 0x6523, v18
	s_delay_alu instid0(VALU_DEP_2) | instskip(NEXT) | instid1(VALU_DEP_2)
	v_lshrrev_b32_e32 v0, 16, v0
	v_lshrrev_b32_e32 v18, 21, v18
	s_delay_alu instid0(VALU_DEP_2) | instskip(NEXT) | instid1(VALU_DEP_2)
	v_sub_nc_u16 v1, v24, v0
	v_mul_lo_u16 v18, 0x51, v18
	s_delay_alu instid0(VALU_DEP_2) | instskip(NEXT) | instid1(VALU_DEP_1)
	v_lshrrev_b16 v1, 1, v1
	v_add_nc_u16 v0, v1, v0
	v_mul_u32_u24_e32 v1, 0x2f69, v17
	v_mul_u32_u24_e32 v17, 0x6523, v17
	s_delay_alu instid0(VALU_DEP_3) | instskip(NEXT) | instid1(VALU_DEP_3)
	v_lshrrev_b16 v90, 4, v0
	v_lshrrev_b32_e32 v1, 16, v1
	s_delay_alu instid0(VALU_DEP_3) | instskip(NEXT) | instid1(VALU_DEP_3)
	v_lshrrev_b32_e32 v208, 21, v17
	v_mul_lo_u16 v0, v90, 27
	s_delay_alu instid0(VALU_DEP_3) | instskip(NEXT) | instid1(VALU_DEP_3)
	v_sub_nc_u16 v2, v16, v1
	v_mul_lo_u16 v17, 0x51, v208
	s_delay_alu instid0(VALU_DEP_3) | instskip(NEXT) | instid1(VALU_DEP_3)
	v_sub_nc_u16 v136, v24, v0
	v_lshrrev_b16 v2, 1, v2
	s_delay_alu instid0(VALU_DEP_3) | instskip(NEXT) | instid1(VALU_DEP_2)
	v_sub_nc_u16 v209, v16, v17
	v_add_nc_u16 v1, v2, v1
	s_delay_alu instid0(VALU_DEP_2) | instskip(NEXT) | instid1(VALU_DEP_2)
	v_lshlrev_b16 v17, 4, v209
	v_lshrrev_b16 v91, 4, v1
	s_delay_alu instid0(VALU_DEP_1) | instskip(NEXT) | instid1(VALU_DEP_1)
	v_mul_lo_u16 v0, v91, 27
	v_sub_nc_u16 v137, v16, v0
	v_lshlrev_b16 v0, 4, v136
	s_delay_alu instid0(VALU_DEP_2) | instskip(NEXT) | instid1(VALU_DEP_2)
	v_lshlrev_b16 v1, 4, v137
	v_and_b32_e32 v0, 0xffff, v0
	s_delay_alu instid0(VALU_DEP_2) | instskip(NEXT) | instid1(VALU_DEP_2)
	v_and_b32_e32 v1, 0xffff, v1
	v_add_co_u32 v4, s2, s10, v0
	s_delay_alu instid0(VALU_DEP_1) | instskip(NEXT) | instid1(VALU_DEP_3)
	v_add_co_ci_u32_e64 v5, null, s11, 0, s2
	v_add_co_u32 v6, s2, s10, v1
	s_delay_alu instid0(VALU_DEP_1)
	v_add_co_ci_u32_e64 v7, null, s11, 0, s2
	ds_load_2addr_b64 v[0:3], v48 offset0:116 offset1:179
	s_clause 0x1
	global_load_b128 v[56:59], v[4:5], off offset:192
	global_load_b128 v[64:67], v[6:7], off offset:192
	s_waitcnt lgkmcnt(0)
	v_mul_f32_e32 v14, v1, v37
	v_mul_f32_e32 v139, v0, v37
	s_delay_alu instid0(VALU_DEP_2) | instskip(SKIP_1) | instid1(VALU_DEP_2)
	v_fma_f32 v138, v0, v36, -v14
	s_waitcnt vmcnt(1)
	v_dual_fmac_f32 v139, v1, v36 :: v_dual_mul_f32 v0, v3, v57
	v_mul_f32_e32 v161, v2, v57
	s_delay_alu instid0(VALU_DEP_2) | instskip(NEXT) | instid1(VALU_DEP_2)
	v_fma_f32 v160, v2, v56, -v0
	v_fmac_f32_e32 v161, v3, v56
	ds_load_2addr_b64 v[0:3], v61 offset0:106 offset1:169
	s_waitcnt lgkmcnt(0)
	v_mul_f32_e32 v4, v1, v59
	v_mul_f32_e32 v163, v0, v59
	s_waitcnt vmcnt(0)
	v_mul_f32_e32 v165, v2, v67
	s_delay_alu instid0(VALU_DEP_3) | instskip(NEXT) | instid1(VALU_DEP_3)
	v_fma_f32 v162, v0, v58, -v4
	v_dual_mul_f32 v0, v3, v67 :: v_dual_fmac_f32 v163, v1, v58
	s_delay_alu instid0(VALU_DEP_3) | instskip(SKIP_1) | instid1(VALU_DEP_3)
	v_fmac_f32_e32 v165, v3, v66
	v_and_b32_e32 v10, 0xff, v10
	v_fma_f32 v164, v2, v66, -v0
	v_mul_u32_u24_e32 v0, 0x2f69, v44
	v_mul_u32_u24_e32 v44, 0x6523, v44
	s_delay_alu instid0(VALU_DEP_4) | instskip(NEXT) | instid1(VALU_DEP_3)
	v_add_lshl_u32 v207, v10, v11, 3
	v_lshrrev_b32_e32 v0, 16, v0
	s_delay_alu instid0(VALU_DEP_3) | instskip(NEXT) | instid1(VALU_DEP_2)
	v_lshrrev_b32_e32 v214, 21, v44
	v_sub_nc_u16 v1, v40, v0
	s_delay_alu instid0(VALU_DEP_2) | instskip(NEXT) | instid1(VALU_DEP_2)
	v_mul_lo_u16 v44, 0x51, v214
	v_lshrrev_b16 v1, 1, v1
	s_delay_alu instid0(VALU_DEP_2) | instskip(NEXT) | instid1(VALU_DEP_2)
	v_sub_nc_u16 v215, v40, v44
	v_add_nc_u16 v0, v1, v0
	v_mul_u32_u24_e32 v1, 0x2f69, v43
	s_delay_alu instid0(VALU_DEP_2) | instskip(NEXT) | instid1(VALU_DEP_2)
	v_lshrrev_b16 v166, 4, v0
	v_lshrrev_b32_e32 v1, 16, v1
	s_delay_alu instid0(VALU_DEP_2) | instskip(NEXT) | instid1(VALU_DEP_2)
	v_mul_lo_u16 v0, v166, 27
	v_sub_nc_u16 v2, v41, v1
	s_delay_alu instid0(VALU_DEP_2) | instskip(NEXT) | instid1(VALU_DEP_2)
	v_sub_nc_u16 v188, v40, v0
	v_lshrrev_b16 v2, 1, v2
	v_mul_u32_u24_e32 v40, 0x6523, v43
	s_delay_alu instid0(VALU_DEP_2) | instskip(NEXT) | instid1(VALU_DEP_2)
	v_add_nc_u16 v1, v2, v1
	v_lshrrev_b32_e32 v216, 21, v40
	s_delay_alu instid0(VALU_DEP_2) | instskip(NEXT) | instid1(VALU_DEP_2)
	v_lshrrev_b16 v167, 4, v1
	v_mul_lo_u16 v40, 0x51, v216
	s_delay_alu instid0(VALU_DEP_2) | instskip(NEXT) | instid1(VALU_DEP_2)
	v_mul_lo_u16 v0, v167, 27
	v_sub_nc_u16 v217, v41, v40
	v_mul_u32_u24_e32 v40, 0x6523, v45
	s_delay_alu instid0(VALU_DEP_3) | instskip(SKIP_1) | instid1(VALU_DEP_3)
	v_sub_nc_u16 v189, v41, v0
	v_lshlrev_b16 v0, 4, v188
	v_lshrrev_b32_e32 v40, 21, v40
	s_delay_alu instid0(VALU_DEP_3) | instskip(NEXT) | instid1(VALU_DEP_3)
	v_lshlrev_b16 v1, 4, v189
	v_and_b32_e32 v0, 0xffff, v0
	s_delay_alu instid0(VALU_DEP_3) | instskip(NEXT) | instid1(VALU_DEP_3)
	v_mul_lo_u16 v40, 0x51, v40
	v_and_b32_e32 v1, 0xffff, v1
	s_delay_alu instid0(VALU_DEP_3) | instskip(NEXT) | instid1(VALU_DEP_1)
	v_add_co_u32 v4, s2, s10, v0
	v_add_co_ci_u32_e64 v5, null, s11, 0, s2
	s_delay_alu instid0(VALU_DEP_3) | instskip(NEXT) | instid1(VALU_DEP_1)
	v_add_co_u32 v6, s2, s10, v1
	v_add_co_ci_u32_e64 v7, null, s11, 0, s2
	ds_load_2addr_b64 v[0:3], v62 offset0:114 offset1:177
	s_clause 0x1
	global_load_b128 v[92:95], v[4:5], off offset:192
	global_load_b128 v[96:99], v[6:7], off offset:192
	v_sub_nc_u16 v218, v42, v40
	s_waitcnt lgkmcnt(0)
	v_mul_f32_e32 v14, v1, v65
	v_mul_f32_e32 v191, v0, v65
	s_delay_alu instid0(VALU_DEP_2) | instskip(SKIP_1) | instid1(VALU_DEP_2)
	v_fma_f32 v190, v0, v64, -v14
	s_waitcnt vmcnt(1)
	v_dual_fmac_f32 v191, v1, v64 :: v_dual_mul_f32 v0, v3, v93
	v_mul_f32_e32 v193, v2, v93
	s_delay_alu instid0(VALU_DEP_2) | instskip(NEXT) | instid1(VALU_DEP_2)
	v_fma_f32 v192, v2, v92, -v0
	v_fmac_f32_e32 v193, v3, v92
	ds_load_2addr_b64 v[0:3], v70 offset0:104 offset1:167
	s_waitcnt lgkmcnt(0)
	v_mul_f32_e32 v4, v1, v95
	v_mul_f32_e32 v195, v0, v95
	s_waitcnt vmcnt(0)
	v_mul_f32_e32 v197, v2, v99
	s_delay_alu instid0(VALU_DEP_3) | instskip(NEXT) | instid1(VALU_DEP_3)
	v_fma_f32 v194, v0, v94, -v4
	v_dual_mul_f32 v0, v3, v99 :: v_dual_fmac_f32 v195, v1, v94
	s_delay_alu instid0(VALU_DEP_3) | instskip(NEXT) | instid1(VALU_DEP_2)
	v_fmac_f32_e32 v197, v3, v98
	v_fma_f32 v196, v2, v98, -v0
	v_mul_u32_u24_e32 v0, 0x2f69, v45
	s_delay_alu instid0(VALU_DEP_1) | instskip(NEXT) | instid1(VALU_DEP_1)
	v_lshrrev_b32_e32 v0, 16, v0
	v_sub_nc_u16 v1, v42, v0
	s_delay_alu instid0(VALU_DEP_1) | instskip(NEXT) | instid1(VALU_DEP_1)
	v_lshrrev_b16 v1, 1, v1
	v_add_nc_u16 v0, v1, v0
	s_delay_alu instid0(VALU_DEP_1) | instskip(NEXT) | instid1(VALU_DEP_1)
	v_lshrrev_b16 v198, 4, v0
	v_mul_lo_u16 v0, v198, 27
	s_delay_alu instid0(VALU_DEP_1) | instskip(NEXT) | instid1(VALU_DEP_1)
	v_sub_nc_u16 v199, v42, v0
	v_lshlrev_b16 v0, 4, v199
	s_delay_alu instid0(VALU_DEP_1) | instskip(NEXT) | instid1(VALU_DEP_1)
	v_and_b32_e32 v0, 0xffff, v0
	v_add_co_u32 v4, s2, s10, v0
	s_delay_alu instid0(VALU_DEP_1)
	v_add_co_ci_u32_e64 v5, null, s11, 0, s2
	ds_load_2addr_b64 v[0:3], v63 offset0:112 offset1:175
	global_load_b128 v[100:103], v[4:5], off offset:192
	s_waitcnt lgkmcnt(0)
	v_mul_f32_e32 v6, v1, v97
	v_mul_f32_e32 v201, v0, v97
	s_delay_alu instid0(VALU_DEP_2) | instskip(SKIP_1) | instid1(VALU_DEP_2)
	v_fma_f32 v200, v0, v96, -v6
	s_waitcnt vmcnt(0)
	v_dual_fmac_f32 v201, v1, v96 :: v_dual_mul_f32 v0, v3, v101
	v_mul_f32_e32 v203, v2, v101
	s_delay_alu instid0(VALU_DEP_2) | instskip(NEXT) | instid1(VALU_DEP_2)
	v_fma_f32 v202, v2, v100, -v0
	v_fmac_f32_e32 v203, v3, v100
	ds_load_2addr_b64 v[0:3], v68 offset0:120 offset1:183
	s_waitcnt lgkmcnt(0)
	v_mul_f32_e32 v4, v3, v21
	v_mul_f32_e32 v6, v2, v21
	s_delay_alu instid0(VALU_DEP_2) | instskip(NEXT) | instid1(VALU_DEP_2)
	v_fma_f32 v14, v2, v20, -v4
	v_fmac_f32_e32 v6, v3, v20
	ds_load_2addr_b64 v[2:5], v255 offset1:63
	v_sub_f32_e32 v205, v14, v12
	v_sub_f32_e32 v204, v6, v13
	v_add_f32_e32 v15, v6, v13
	s_waitcnt lgkmcnt(0)
	v_add_f32_e32 v7, v3, v6
	v_add_f32_e32 v6, v2, v14
	s_delay_alu instid0(VALU_DEP_3) | instskip(NEXT) | instid1(VALU_DEP_3)
	v_fma_f32 v3, -0.5, v15, v3
	v_add_f32_e32 v7, v7, v13
	v_add_f32_e32 v13, v14, v12
	s_delay_alu instid0(VALU_DEP_3) | instskip(SKIP_1) | instid1(VALU_DEP_3)
	v_dual_add_f32 v6, v6, v12 :: v_dual_fmamk_f32 v15, v205, 0xbf5db3d7, v3
	v_fmac_f32_e32 v3, 0x3f5db3d7, v205
	v_fma_f32 v2, -0.5, v13, v2
	ds_load_b64 v[25:26], v255 offset:13104
	ds_load_2addr_b64 v[10:13], v255 offset0:126 offset1:189
	ds_load_2addr_b64 v[71:74], v69 offset0:124 offset1:187
	;; [unrolled: 1-line block ×3, first 2 shown]
	s_waitcnt lgkmcnt(0)
	s_barrier
	buffer_gl0_inv
	v_fmamk_f32 v14, v204, 0x3f5db3d7, v2
	v_fmac_f32_e32 v2, 0xbf5db3d7, v204
	ds_store_2addr_b64 v207, v[6:7], v[14:15] offset1:27
	v_add_f32_e32 v6, v83, v51
	ds_store_b64 v207, v[2:3] offset:432
	v_add_f32_e32 v2, v5, v83
	v_add_f32_e32 v7, v82, v47
	v_dual_sub_f32 v14, v83, v51 :: v_dual_fmac_f32 v5, -0.5, v6
	v_and_b32_e32 v6, 0xffff, v19
	s_delay_alu instid0(VALU_DEP_4) | instskip(SKIP_2) | instid1(VALU_DEP_4)
	v_dual_add_f32 v3, v2, v51 :: v_dual_add_f32 v2, v4, v82
	v_sub_f32_e32 v15, v82, v47
	v_fma_f32 v4, -0.5, v7, v4
	v_mul_u32_u24_e32 v6, 0x51, v6
	s_delay_alu instid0(VALU_DEP_3) | instskip(SKIP_1) | instid1(VALU_DEP_3)
	v_dual_add_f32 v2, v2, v47 :: v_dual_fmamk_f32 v7, v15, 0xbf5db3d7, v5
	v_fmac_f32_e32 v5, 0x3f5db3d7, v15
	v_add_lshl_u32 v19, v6, v27, 3
	v_fmamk_f32 v6, v14, 0x3f5db3d7, v4
	v_fmac_f32_e32 v4, 0xbf5db3d7, v14
	v_dual_sub_f32 v14, v85, v87 :: v_dual_sub_f32 v15, v84, v86
	ds_store_2addr_b64 v19, v[2:3], v[6:7] offset1:27
	ds_store_b64 v19, v[4:5] offset:432
	v_dual_add_f32 v5, v85, v87 :: v_dual_add_f32 v4, v84, v86
	v_and_b32_e32 v6, 0xffff, v52
	v_add_f32_e32 v2, v11, v85
	s_delay_alu instid0(VALU_DEP_3) | instskip(NEXT) | instid1(VALU_DEP_4)
	v_fma_f32 v5, -0.5, v5, v11
	v_fma_f32 v4, -0.5, v4, v10
	s_delay_alu instid0(VALU_DEP_4) | instskip(NEXT) | instid1(VALU_DEP_4)
	v_mul_u32_u24_e32 v6, 0x51, v6
	v_add_f32_e32 v3, v2, v87
	s_delay_alu instid0(VALU_DEP_4) | instskip(SKIP_1) | instid1(VALU_DEP_4)
	v_dual_add_f32 v2, v10, v84 :: v_dual_fmamk_f32 v7, v15, 0xbf5db3d7, v5
	v_fmac_f32_e32 v5, 0x3f5db3d7, v15
	v_add_lshl_u32 v10, v6, v75, 3
	v_fmamk_f32 v6, v14, 0x3f5db3d7, v4
	v_fmac_f32_e32 v4, 0xbf5db3d7, v14
	v_add_f32_e32 v2, v2, v86
	v_sub_f32_e32 v11, v160, v162
	scratch_store_b32 off, v10, off offset:352 ; 4-byte Folded Spill
	ds_store_b64 v10, v[4:5] offset:432
	v_add_f32_e32 v4, v139, v89
	ds_store_2addr_b64 v10, v[2:3], v[6:7] offset1:27
	v_dual_add_f32 v2, v13, v139 :: v_dual_add_f32 v5, v138, v88
	v_dual_sub_f32 v6, v139, v89 :: v_dual_fmac_f32 v13, -0.5, v4
	v_and_b32_e32 v4, 0xffff, v53
	s_delay_alu instid0(VALU_DEP_3) | instskip(SKIP_2) | instid1(VALU_DEP_4)
	v_dual_add_f32 v3, v2, v89 :: v_dual_add_f32 v2, v12, v138
	v_sub_f32_e32 v7, v138, v88
	v_fma_f32 v12, -0.5, v5, v12
	v_mul_u32_u24_e32 v4, 0x51, v4
	s_delay_alu instid0(VALU_DEP_3) | instskip(SKIP_1) | instid1(VALU_DEP_3)
	v_dual_add_f32 v2, v2, v88 :: v_dual_fmamk_f32 v5, v7, 0xbf5db3d7, v13
	v_fmac_f32_e32 v13, 0x3f5db3d7, v7
	v_add_lshl_u32 v10, v4, v81, 3
	v_fmamk_f32 v4, v6, 0x3f5db3d7, v12
	v_fmac_f32_e32 v12, 0xbf5db3d7, v6
	v_mad_u16 v6, 0x51, v90, v136
	scratch_store_b32 off, v10, off offset:344 ; 4-byte Folded Spill
	ds_store_2addr_b64 v10, v[2:3], v[4:5] offset1:27
	v_dual_add_f32 v2, v72, v161 :: v_dual_add_f32 v5, v161, v163
	v_add_f32_e32 v4, v160, v162
	ds_store_b64 v10, v[12:13] offset:432
	v_sub_f32_e32 v10, v161, v163
	v_dual_add_f32 v3, v2, v163 :: v_dual_add_f32 v2, v71, v160
	v_fma_f32 v4, -0.5, v4, v71
	v_fma_f32 v5, -0.5, v5, v72
	v_and_b32_e32 v6, 0xffff, v6
	s_delay_alu instid0(VALU_DEP_2) | instskip(NEXT) | instid1(VALU_DEP_2)
	v_dual_add_f32 v2, v2, v162 :: v_dual_fmamk_f32 v7, v11, 0xbf5db3d7, v5
	v_lshlrev_b32_e32 v12, 3, v6
	v_fmamk_f32 v6, v10, 0x3f5db3d7, v4
	v_fmac_f32_e32 v4, 0xbf5db3d7, v10
	v_dual_fmac_f32 v5, 0x3f5db3d7, v11 :: v_dual_sub_f32 v10, v190, v164
	v_sub_f32_e32 v11, v192, v194
	ds_store_2addr_b64 v12, v[2:3], v[6:7] offset1:27
	v_add_f32_e32 v2, v74, v191
	ds_store_b64 v12, v[4:5] offset:432
	v_mad_u16 v4, 0x51, v91, v137
	v_add_f32_e32 v5, v191, v165
	v_dual_add_f32 v7, v190, v164 :: v_dual_sub_f32 v6, v191, v165
	v_dual_add_f32 v3, v2, v165 :: v_dual_add_f32 v2, v73, v190
	s_delay_alu instid0(VALU_DEP_3) | instskip(NEXT) | instid1(VALU_DEP_3)
	v_fmac_f32_e32 v74, -0.5, v5
	v_fma_f32 v73, -0.5, v7, v73
	v_and_b32_e32 v4, 0xffff, v4
	v_lshrrev_b16 v91, 14, v9
	v_add_f32_e32 v2, v2, v164
	v_fmamk_f32 v5, v10, 0xbf5db3d7, v74
	s_delay_alu instid0(VALU_DEP_4)
	v_dual_fmac_f32 v74, 0x3f5db3d7, v10 :: v_dual_lshlrev_b32 v7, 3, v4
	v_fmamk_f32 v4, v6, 0x3f5db3d7, v73
	v_fmac_f32_e32 v73, 0xbf5db3d7, v6
	v_mad_u16 v6, 0x51, v166, v188
	v_sub_f32_e32 v10, v193, v195
	s_clause 0x1
	scratch_store_b32 off, v12, off offset:340
	scratch_store_b32 off, v7, off offset:332
	ds_store_2addr_b64 v7, v[2:3], v[4:5] offset1:27
	v_dual_add_f32 v2, v78, v193 :: v_dual_add_f32 v5, v193, v195
	v_add_f32_e32 v4, v192, v194
	v_and_b32_e32 v6, 0xffff, v6
	ds_store_b64 v7, v[73:74] offset:432
	v_dual_add_f32 v3, v2, v195 :: v_dual_add_f32 v2, v77, v192
	v_fma_f32 v4, -0.5, v4, v77
	v_fma_f32 v5, -0.5, v5, v78
	v_lshlrev_b32_e32 v12, 3, v6
	v_mul_lo_u16 v9, 0x51, v91
	v_add_f32_e32 v2, v2, v194
	v_fmamk_f32 v6, v10, 0x3f5db3d7, v4
	v_dual_fmamk_f32 v7, v11, 0xbf5db3d7, v5 :: v_dual_fmac_f32 v4, 0xbf5db3d7, v10
	v_dual_fmac_f32 v5, 0x3f5db3d7, v11 :: v_dual_sub_f32 v10, v200, v196
	v_sub_nc_u16 v9, v46, v9
	ds_store_2addr_b64 v12, v[2:3], v[6:7] offset1:27
	v_add_f32_e32 v2, v80, v201
	ds_store_b64 v12, v[4:5] offset:432
	v_mad_u16 v4, 0x51, v167, v189
	v_add_f32_e32 v5, v201, v197
	v_add_f32_e32 v7, v200, v196
	v_dual_add_f32 v3, v2, v197 :: v_dual_add_f32 v2, v79, v200
	v_sub_f32_e32 v6, v201, v197
	v_and_b32_e32 v4, 0xffff, v4
	s_delay_alu instid0(VALU_DEP_4) | instskip(NEXT) | instid1(VALU_DEP_4)
	v_fma_f32 v79, -0.5, v7, v79
	v_dual_add_f32 v2, v2, v196 :: v_dual_and_b32 v197, 0xff, v9
	v_lshrrev_b16 v196, 14, v8
	s_delay_alu instid0(VALU_DEP_4) | instskip(NEXT) | instid1(VALU_DEP_4)
	v_dual_fmac_f32 v80, -0.5, v5 :: v_dual_lshlrev_b32 v7, 3, v4
	v_fmamk_f32 v4, v6, 0x3f5db3d7, v79
	v_fmac_f32_e32 v79, 0xbf5db3d7, v6
	s_clause 0x2
	scratch_store_b32 off, v19, off offset:356
	scratch_store_b32 off, v12, off offset:328
	;; [unrolled: 1-line block ×3, first 2 shown]
	v_fmamk_f32 v5, v10, 0xbf5db3d7, v80
	v_fmac_f32_e32 v80, 0x3f5db3d7, v10
	v_mul_lo_u16 v8, 0x51, v196
	ds_store_2addr_b64 v7, v[2:3], v[4:5] offset1:27
	v_mul_f32_e32 v2, v26, v103
	v_add_f32_e32 v3, v1, v203
	ds_store_b64 v7, v[79:80] offset:432
	v_mad_u16 v5, 0x51, v198, v199
	v_sub_nc_u16 v8, v247, v8
	v_fma_f32 v4, v25, v102, -v2
	v_mul_f32_e32 v2, v25, v103
	s_delay_alu instid0(VALU_DEP_3) | instskip(NEXT) | instid1(VALU_DEP_3)
	v_and_b32_e32 v198, 0xff, v8
	v_add_f32_e32 v10, v202, v4
	s_delay_alu instid0(VALU_DEP_3) | instskip(NEXT) | instid1(VALU_DEP_1)
	v_fmac_f32_e32 v2, v26, v102
	v_dual_sub_f32 v11, v202, v4 :: v_dual_sub_f32 v6, v203, v2
	v_add_f32_e32 v7, v203, v2
	v_add_f32_e32 v3, v3, v2
	;; [unrolled: 1-line block ×3, first 2 shown]
	v_fma_f32 v0, -0.5, v10, v0
	s_delay_alu instid0(VALU_DEP_2) | instskip(SKIP_1) | instid1(VALU_DEP_2)
	v_dual_fmac_f32 v1, -0.5, v7 :: v_dual_add_f32 v2, v2, v4
	v_and_b32_e32 v4, 0xffff, v5
	v_fmamk_f32 v5, v11, 0xbf5db3d7, v1
	v_fmac_f32_e32 v1, 0x3f5db3d7, v11
	s_delay_alu instid0(VALU_DEP_3)
	v_dual_fmamk_f32 v4, v6, 0x3f5db3d7, v0 :: v_dual_lshlrev_b32 v7, 3, v4
	v_fmac_f32_e32 v0, 0xbf5db3d7, v6
	scratch_store_b32 off, v207, off offset:348 ; 4-byte Folded Spill
	v_sub_nc_u16 v207, v24, v18
	scratch_store_b32 off, v7, off offset:324 ; 4-byte Folded Spill
	ds_store_2addr_b64 v7, v[2:3], v[4:5] offset1:27
	ds_store_b64 v7, v[0:1] offset:432
	v_add_co_u32 v0, s2, 0xffffffee, v206
	s_delay_alu instid0(VALU_DEP_1) | instskip(SKIP_1) | instid1(VALU_DEP_3)
	v_add_co_ci_u32_e64 v1, null, 0, -1, s2
	v_lshlrev_b32_e32 v2, 4, v206
	v_cndmask_b32_e32 v52, v0, v49, vcc_lo
	s_waitcnt lgkmcnt(0)
	s_waitcnt_vscnt null, 0x0
	v_cndmask_b32_e32 v53, v1, v50, vcc_lo
	s_barrier
	buffer_gl0_inv
	scratch_store_b32 off, v206, off        ; 4-byte Folded Spill
	v_lshlrev_b16 v16, 4, v207
	v_lshlrev_b64 v[0:1], 4, v[52:53]
	v_and_b32_e32 v18, 0xffff, v17
	s_delay_alu instid0(VALU_DEP_3) | instskip(NEXT) | instid1(VALU_DEP_3)
	v_and_b32_e32 v16, 0xffff, v16
	v_add_co_u32 v0, vcc_lo, s10, v0
	s_delay_alu instid0(VALU_DEP_4)
	v_add_co_ci_u32_e32 v1, vcc_lo, s11, v1, vcc_lo
	s_clause 0x1
	global_load_b128 v[4:7], v[0:1], off offset:624
	global_load_b128 v[0:3], v2, s[10:11] offset:624
	ds_load_2addr_b64 v[10:13], v60 offset0:110 offset1:173
	ds_load_2addr_b64 v[71:74], v55 offset0:118 offset1:181
	v_add_co_u32 v16, s2, s10, v16
	s_delay_alu instid0(VALU_DEP_1) | instskip(SKIP_1) | instid1(VALU_DEP_1)
	v_add_co_ci_u32_e64 v17, null, s11, 0, s2
	v_add_co_u32 v24, s2, s10, v18
	v_add_co_ci_u32_e64 v25, null, s11, 0, s2
	v_cmp_lt_u16_e32 vcc_lo, 17, v54
	s_waitcnt vmcnt(1) lgkmcnt(0)
	v_mul_f32_e32 v8, v72, v5
	s_waitcnt vmcnt(0)
	v_mul_f32_e32 v14, v11, v3
	v_mul_f32_e32 v51, v10, v3
	v_dual_mul_f32 v53, v12, v7 :: v_dual_mul_f32 v200, v71, v5
	v_fma_f32 v199, v71, v4, -v8
	s_delay_alu instid0(VALU_DEP_4)
	v_fma_f32 v50, v10, v2, -v14
	v_mul_f32_e32 v10, v13, v7
	v_lshlrev_b32_e32 v8, 4, v197
	scratch_store_b128 off, v[4:7], off offset:256 ; 16-byte Folded Spill
	v_fmac_f32_e32 v51, v11, v2
	v_fmac_f32_e32 v53, v13, v6
	v_fma_f32 v75, v12, v6, -v10
	v_lshlrev_b32_e32 v12, 4, v198
	v_fmac_f32_e32 v200, v72, v4
	s_clause 0x1
	global_load_b128 v[4:7], v8, s[10:11] offset:624
	global_load_b128 v[8:11], v12, s[10:11] offset:624
	ds_load_2addr_b64 v[46:49], v48 offset0:116 offset1:179
	s_waitcnt vmcnt(1)
	v_mul_f32_e32 v19, v74, v5
	v_mul_f32_e32 v202, v73, v5
	scratch_store_b128 off, v[4:7], off offset:272 ; 16-byte Folded Spill
	s_waitcnt vmcnt(0)
	scratch_store_b128 off, v[8:11], off offset:288 ; 16-byte Folded Spill
	s_waitcnt lgkmcnt(0)
	v_mul_f32_e32 v18, v47, v9
	v_fma_f32 v201, v73, v4, -v19
	v_fmac_f32_e32 v202, v74, v4
	ds_load_2addr_b64 v[71:74], v76 offset0:108 offset1:171
	v_mul_f32_e32 v211, v46, v9
	v_fma_f32 v210, v46, v8, -v18
	s_delay_alu instid0(VALU_DEP_2) | instskip(SKIP_4) | instid1(VALU_DEP_3)
	v_fmac_f32_e32 v211, v47, v8
	s_waitcnt lgkmcnt(0)
	v_mul_f32_e32 v19, v72, v7
	v_mul_f32_e32 v204, v71, v7
	;; [unrolled: 1-line block ×3, first 2 shown]
	v_fma_f32 v203, v71, v6, -v19
	s_delay_alu instid0(VALU_DEP_3)
	v_fmac_f32_e32 v204, v72, v6
	s_clause 0x1
	global_load_b128 v[4:7], v[16:17], off offset:624
	global_load_b128 v[24:27], v[24:25], off offset:624
	ds_load_2addr_b64 v[192:195], v68 offset0:120 offset1:183
	v_mul_f32_e32 v19, v74, v11
	v_fmac_f32_e32 v206, v74, v10
	scratch_store_b128 off, v[0:3], off offset:240 ; 16-byte Folded Spill
	v_fma_f32 v205, v73, v10, -v19
	ds_load_2addr_b64 v[71:74], v255 offset1:63
	s_waitcnt lgkmcnt(1)
	v_mul_f32_e32 v41, v194, v1
	v_mul_f32_e32 v40, v195, v1
	s_delay_alu instid0(VALU_DEP_2) | instskip(NEXT) | instid1(VALU_DEP_2)
	v_fmac_f32_e32 v41, v195, v0
	v_fma_f32 v40, v194, v0, -v40
	s_waitcnt lgkmcnt(0)
	s_delay_alu instid0(VALU_DEP_2) | instskip(NEXT) | instid1(VALU_DEP_2)
	v_dual_add_f32 v42, v72, v41 :: v_dual_sub_f32 v219, v41, v51
	v_dual_add_f32 v41, v41, v51 :: v_dual_sub_f32 v220, v40, v50
	s_delay_alu instid0(VALU_DEP_2) | instskip(SKIP_1) | instid1(VALU_DEP_3)
	v_add_f32_e32 v90, v42, v51
	v_add_f32_e32 v42, v71, v40
	v_fma_f32 v189, -0.5, v41, v72
	v_lshlrev_b16 v41, 4, v217
	s_delay_alu instid0(VALU_DEP_3) | instskip(SKIP_4) | instid1(VALU_DEP_4)
	v_add_f32_e32 v89, v42, v50
	v_add_f32_e32 v42, v40, v50
	v_lshlrev_b16 v40, 4, v215
	v_fmamk_f32 v191, v220, 0xbf5db3d7, v189
	v_fmac_f32_e32 v189, 0x3f5db3d7, v220
	v_fma_f32 v188, -0.5, v42, v71
	v_and_b32_e32 v42, 0xffff, v41
	v_lshlrev_b16 v41, 4, v218
	v_and_b32_e32 v40, 0xffff, v40
	s_delay_alu instid0(VALU_DEP_4) | instskip(SKIP_1) | instid1(VALU_DEP_4)
	v_fmamk_f32 v190, v219, 0x3f5db3d7, v188
	v_fmac_f32_e32 v188, 0xbf5db3d7, v219
	v_and_b32_e32 v43, 0xffff, v41
	s_delay_alu instid0(VALU_DEP_4) | instskip(NEXT) | instid1(VALU_DEP_1)
	v_add_co_u32 v40, s2, s10, v40
	v_add_co_ci_u32_e64 v41, null, s11, 0, s2
	v_add_co_u32 v44, s2, s10, v42
	s_delay_alu instid0(VALU_DEP_1) | instskip(SKIP_3) | instid1(VALU_DEP_2)
	v_add_co_ci_u32_e64 v45, null, s11, 0, s2
	s_waitcnt vmcnt(1)
	v_mul_f32_e32 v46, v49, v5
	v_mul_f32_e32 v213, v48, v5
	v_fma_f32 v212, v48, v4, -v46
	v_add_co_u32 v48, s2, s10, v43
	s_delay_alu instid0(VALU_DEP_3)
	v_fmac_f32_e32 v213, v49, v4
	v_add_co_ci_u32_e64 v49, null, s11, 0, s2
	s_clause 0x2
	global_load_b128 v[40:43], v[40:41], off offset:624
	global_load_b128 v[44:47], v[44:45], off offset:624
	;; [unrolled: 1-line block ×3, first 2 shown]
	ds_load_b64 v[194:195], v255 offset:13104
	ds_load_2addr_b64 v[77:80], v69 offset0:124 offset1:187
	ds_load_2addr_b64 v[69:72], v70 offset0:104 offset1:167
	;; [unrolled: 1-line block ×7, first 2 shown]
	s_waitcnt vmcnt(0) lgkmcnt(0)
	s_waitcnt_vscnt null, 0x0
	s_barrier
	buffer_gl0_inv
	ds_store_2addr_b64 v255, v[89:90], v[190:191] offset1:81
	v_cndmask_b32_e64 v89, 0, 0xf3, vcc_lo
	ds_store_b64 v255, v[188:189] offset:1296
	v_sub_f32_e32 v188, v200, v53
	v_add_f32_e32 v90, v199, v75
	v_cmp_gt_u16_e32 vcc_lo, 54, v54
	v_add_lshl_u32 v0, v52, v89, 3
	v_dual_add_f32 v52, v74, v200 :: v_dual_add_f32 v89, v200, v53
	v_mad_u16 v54, 0xf3, v216, v217
	s_clause 0x1
	scratch_store_b128 off, v[4:7], off offset:408
	scratch_store_b32 off, v0, off offset:308
	v_dual_add_f32 v53, v52, v53 :: v_dual_add_f32 v52, v73, v199
	v_fma_f32 v73, -0.5, v90, v73
	v_fmac_f32_e32 v74, -0.5, v89
	s_load_b64 s[2:3], s[0:1], 0x38
	s_delay_alu instid0(VALU_DEP_3) | instskip(SKIP_2) | instid1(VALU_DEP_2)
	v_add_f32_e32 v52, v52, v75
	v_sub_f32_e32 v75, v199, v75
	v_fmamk_f32 v89, v188, 0x3f5db3d7, v73
	v_dual_fmac_f32 v73, 0xbf5db3d7, v188 :: v_dual_fmamk_f32 v90, v75, 0xbf5db3d7, v74
	v_fmac_f32_e32 v74, 0x3f5db3d7, v75
	ds_store_2addr_b64 v0, v[52:53], v[89:90] offset1:81
	ds_store_b64 v0, v[73:74] offset:1296
	v_add_f32_e32 v52, v82, v202
	v_dual_add_f32 v74, v202, v204 :: v_dual_add_f32 v73, v201, v203
	v_sub_f32_e32 v89, v201, v203
	s_delay_alu instid0(VALU_DEP_3) | instskip(NEXT) | instid1(VALU_DEP_3)
	v_dual_add_f32 v53, v52, v204 :: v_dual_add_f32 v52, v81, v201
	v_fma_f32 v73, -0.5, v73, v81
	s_delay_alu instid0(VALU_DEP_4) | instskip(SKIP_1) | instid1(VALU_DEP_4)
	v_fma_f32 v74, -0.5, v74, v82
	v_and_b32_e32 v81, 0xffff, v91
	v_add_f32_e32 v52, v52, v203
	s_delay_alu instid0(VALU_DEP_3) | instskip(NEXT) | instid1(VALU_DEP_3)
	v_fmamk_f32 v82, v89, 0xbf5db3d7, v74
	v_mul_u32_u24_e32 v81, 0xf3, v81
	v_fmac_f32_e32 v74, 0x3f5db3d7, v89
	s_delay_alu instid0(VALU_DEP_2) | instskip(SKIP_4) | instid1(VALU_DEP_3)
	v_add_lshl_u32 v0, v81, v197, 3
	scratch_store_b32 off, v0, off offset:312 ; 4-byte Folded Spill
	v_mul_f32_e32 v89, v164, v45
	v_sub_f32_e32 v75, v202, v204
	v_mul_f32_e32 v91, v166, v49
	v_fmac_f32_e32 v89, v165, v44
	s_delay_alu instid0(VALU_DEP_3)
	v_fmamk_f32 v81, v75, 0x3f5db3d7, v73
	v_fmac_f32_e32 v73, 0xbf5db3d7, v75
	v_sub_f32_e32 v75, v211, v206
	v_fmac_f32_e32 v91, v167, v48
	ds_store_2addr_b64 v0, v[52:53], v[81:82] offset1:81
	ds_store_b64 v0, v[73:74] offset:1296
	v_dual_add_f32 v73, v211, v206 :: v_dual_add_f32 v52, v84, v211
	v_add_f32_e32 v74, v210, v205
	v_sub_f32_e32 v81, v210, v205
	s_delay_alu instid0(VALU_DEP_3) | instskip(NEXT) | instid1(VALU_DEP_4)
	v_dual_fmac_f32 v84, -0.5, v73 :: v_dual_and_b32 v73, 0xffff, v196
	v_add_f32_e32 v53, v52, v206
	v_add_f32_e32 v52, v83, v210
	v_fma_f32 v83, -0.5, v74, v83
	s_delay_alu instid0(VALU_DEP_4) | instskip(SKIP_3) | instid1(VALU_DEP_3)
	v_fmamk_f32 v74, v81, 0xbf5db3d7, v84
	v_mul_u32_u24_e32 v73, 0xf3, v73
	v_fmac_f32_e32 v84, 0x3f5db3d7, v81
	v_add_f32_e32 v52, v52, v205
	v_add_lshl_u32 v0, v73, v198, 3
	v_fmamk_f32 v73, v75, 0x3f5db3d7, v83
	v_fmac_f32_e32 v83, 0xbf5db3d7, v75
	scratch_store_b32 off, v0, off offset:316 ; 4-byte Folded Spill
	ds_store_2addr_b64 v0, v[52:53], v[73:74] offset1:81
	v_mul_f32_e32 v52, v85, v7
	v_mul_f32_e32 v53, v86, v7
	ds_store_b64 v0, v[83:84] offset:1296
	v_mul_f32_e32 v84, v70, v43
	v_mul_f32_e32 v83, v138, v41
	v_fmac_f32_e32 v52, v86, v6
	v_fma_f32 v73, v85, v6, -v53
	v_add_f32_e32 v53, v78, v213
	v_fma_f32 v84, v69, v42, -v84
	v_mul_f32_e32 v85, v69, v43
	v_sub_f32_e32 v75, v213, v52
	v_add_f32_e32 v74, v213, v52
	v_add_f32_e32 v53, v53, v52
	v_dual_add_f32 v52, v77, v212 :: v_dual_add_f32 v81, v212, v73
	v_sub_f32_e32 v82, v212, v73
	s_delay_alu instid0(VALU_DEP_4) | instskip(SKIP_1) | instid1(VALU_DEP_4)
	v_fma_f32 v74, -0.5, v74, v78
	v_mul_f32_e32 v69, v72, v47
	v_add_f32_e32 v52, v52, v73
	v_fma_f32 v73, -0.5, v81, v77
	v_and_b32_e32 v77, 0xffff, v207
	v_fmamk_f32 v78, v82, 0xbf5db3d7, v74
	v_fma_f32 v86, v71, v46, -v69
	v_mul_f32_e32 v69, v165, v45
	s_delay_alu instid0(VALU_DEP_4) | instskip(SKIP_3) | instid1(VALU_DEP_4)
	v_dual_fmac_f32 v85, v70, v42 :: v_dual_lshlrev_b32 v0, 3, v77
	v_fmamk_f32 v77, v75, 0x3f5db3d7, v73
	v_fmac_f32_e32 v73, 0xbf5db3d7, v75
	v_dual_fmac_f32 v74, 0x3f5db3d7, v82 :: v_dual_fmac_f32 v83, v139, v40
	v_add_nc_u32_e32 v81, 0x1400, v0
	scratch_store_b32 off, v0, off offset:336 ; 4-byte Folded Spill
	ds_store_b64 v0, v[73:74] offset:7128
	ds_store_2addr_b64 v81, v[52:53], v[77:78] offset0:89 offset1:170
	v_dual_mul_f32 v53, v137, v25 :: v_dual_mul_f32 v52, v88, v27
	v_mul_f32_e32 v81, v139, v41
	s_delay_alu instid0(VALU_DEP_2) | instskip(SKIP_1) | instid1(VALU_DEP_4)
	v_fma_f32 v78, v136, v24, -v53
	v_mul_f32_e32 v53, v136, v25
	v_fma_f32 v77, v87, v26, -v52
	v_mul_f32_e32 v52, v87, v27
	v_mul_f32_e32 v87, v71, v47
	v_fma_f32 v81, v138, v40, -v81
	v_fmac_f32_e32 v53, v137, v24
	s_delay_alu instid0(VALU_DEP_4) | instskip(SKIP_2) | instid1(VALU_DEP_4)
	v_dual_sub_f32 v73, v78, v77 :: v_dual_fmac_f32 v52, v88, v26
	v_fma_f32 v88, v164, v44, -v69
	v_mul_f32_e32 v69, v167, v49
	v_add_f32_e32 v70, v80, v53
	v_fmac_f32_e32 v87, v72, v46
	v_sub_f32_e32 v71, v53, v52
	v_add_f32_e32 v72, v53, v52
	v_fma_f32 v90, v166, v48, -v69
	v_mad_u16 v69, 0xf3, v208, v209
	v_add_f32_e32 v53, v70, v52
	v_add_f32_e32 v70, v78, v77
	;; [unrolled: 1-line block ×3, first 2 shown]
	s_delay_alu instid0(VALU_DEP_4) | instskip(SKIP_1) | instid1(VALU_DEP_4)
	v_dual_fmac_f32 v80, -0.5, v72 :: v_dual_and_b32 v69, 0xffff, v69
	v_sub_f32_e32 v74, v81, v84
	v_fma_f32 v79, -0.5, v70, v79
	s_delay_alu instid0(VALU_DEP_4) | instskip(NEXT) | instid1(VALU_DEP_4)
	v_add_f32_e32 v52, v52, v77
	v_fmamk_f32 v70, v73, 0xbf5db3d7, v80
	v_lshlrev_b32_e32 v0, 3, v69
	s_delay_alu instid0(VALU_DEP_4)
	v_dual_fmac_f32 v80, 0x3f5db3d7, v73 :: v_dual_fmamk_f32 v69, v71, 0x3f5db3d7, v79
	v_fmac_f32_e32 v79, 0xbf5db3d7, v71
	v_mad_u16 v71, 0xf3, v214, v215
	v_sub_f32_e32 v73, v83, v85
	scratch_store_b32 off, v0, off offset:360 ; 4-byte Folded Spill
	ds_store_2addr_b64 v0, v[52:53], v[69:70] offset1:81
	v_add_f32_e32 v52, v161, v83
	v_dual_add_f32 v70, v83, v85 :: v_dual_add_f32 v69, v81, v84
	v_and_b32_e32 v71, 0xffff, v71
	ds_store_b64 v0, v[79:80] offset:1296
	v_add_f32_e32 v53, v52, v85
	v_add_f32_e32 v52, v160, v81
	v_fma_f32 v69, -0.5, v69, v160
	v_fma_f32 v70, -0.5, v70, v161
	v_dual_add_f32 v75, v192, v90 :: v_dual_lshlrev_b32 v0, 3, v71
	s_delay_alu instid0(VALU_DEP_3) | instskip(NEXT) | instid1(VALU_DEP_3)
	v_dual_add_f32 v52, v52, v84 :: v_dual_fmamk_f32 v71, v73, 0x3f5db3d7, v69
	v_dual_fmamk_f32 v72, v74, 0xbf5db3d7, v70 :: v_dual_fmac_f32 v69, 0xbf5db3d7, v73
	v_dual_fmac_f32 v70, 0x3f5db3d7, v74 :: v_dual_add_f32 v73, v193, v91
	ds_store_2addr_b64 v0, v[52:53], v[71:72] offset1:81
	v_mul_f32_e32 v53, v194, v51
	v_mul_f32_e32 v52, v195, v51
	ds_store_b64 v0, v[69:70] offset:1296
	v_add_f32_e32 v70, v163, v89
	v_dual_add_f32 v72, v162, v88 :: v_dual_fmac_f32 v53, v195, v50
	v_fma_f32 v52, v194, v50, -v52
	v_add_f32_e32 v71, v89, v87
	s_delay_alu instid0(VALU_DEP_4) | instskip(NEXT) | instid1(VALU_DEP_4)
	v_dual_add_f32 v195, v70, v87 :: v_dual_add_f32 v70, v88, v86
	v_add_f32_e32 v74, v91, v53
	s_delay_alu instid0(VALU_DEP_4) | instskip(SKIP_1) | instid1(VALU_DEP_4)
	v_dual_add_f32 v201, v73, v53 :: v_dual_add_f32 v200, v75, v52
	v_sub_f32_e32 v69, v89, v87
	v_fma_f32 v162, -0.5, v70, v162
	v_dual_sub_f32 v70, v91, v53 :: v_dual_add_f32 v53, v90, v52
	v_dual_sub_f32 v52, v90, v52 :: v_dual_fmac_f32 v193, -0.5, v74
	v_add_f32_e32 v194, v72, v86
	v_sub_f32_e32 v72, v88, v86
	s_delay_alu instid0(VALU_DEP_4)
	v_fma_f32 v192, -0.5, v53, v192
	v_and_b32_e32 v53, 0xffff, v218
	v_fmamk_f32 v203, v52, 0xbf5db3d7, v193
	v_fmac_f32_e32 v193, 0x3f5db3d7, v52
	v_dual_fmac_f32 v163, -0.5, v71 :: v_dual_and_b32 v52, 0xffff, v54
	v_fmamk_f32 v196, v69, 0x3f5db3d7, v162
	v_fmac_f32_e32 v162, 0xbf5db3d7, v69
	s_delay_alu instid0(VALU_DEP_3)
	v_dual_fmamk_f32 v202, v70, 0x3f5db3d7, v192 :: v_dual_lshlrev_b32 v1, 3, v52
	scratch_store_b32 off, v0, off offset:304 ; 4-byte Folded Spill
	v_dual_fmamk_f32 v197, v72, 0xbf5db3d7, v163 :: v_dual_lshlrev_b32 v0, 3, v53
	v_fmac_f32_e32 v163, 0x3f5db3d7, v72
	scratch_store_b32 off, v1, off offset:368 ; 4-byte Folded Spill
	v_fmac_f32_e32 v192, 0xbf5db3d7, v70
	v_add_nc_u32_e32 v52, 0x2c00, v0
	ds_store_2addr_b64 v1, v[194:195], v[196:197] offset1:81
	ds_store_b64 v1, v[162:163] offset:1296
	scratch_store_b32 off, v0, off offset:364 ; 4-byte Folded Spill
	ds_store_b64 v0, v[192:193] offset:12960
	ds_store_2addr_b64 v52, v[200:201], v[202:203] offset0:50 offset1:131
	s_waitcnt lgkmcnt(0)
	s_waitcnt_vscnt null, 0x0
	s_barrier
	buffer_gl0_inv
	ds_load_b64 v[160:161], v255 offset:12672
	ds_load_2addr_b64 v[72:75], v68 offset0:102 offset1:165
	ds_load_2addr_b64 v[214:217], v55 offset0:100 offset1:217
	;; [unrolled: 1-line block ×6, first 2 shown]
	ds_load_2addr_b64 v[206:209], v255 offset1:63
	ds_load_2addr_b64 v[164:167], v255 offset0:126 offset1:243
	ds_load_2addr_b64 v[218:221], v221 offset0:50 offset1:113
	;; [unrolled: 1-line block ×3, first 2 shown]
	s_and_saveexec_b32 s0, vcc_lo
	s_cbranch_execz .LBB0_3
; %bb.2:
	v_add_nc_u32_e32 v52, 0x1500, v255
	ds_load_2addr_b64 v[202:205], v76 offset0:9 offset1:252
	ds_load_2addr_b64 v[198:201], v52 offset0:3 offset1:246
	v_add_nc_u32_e32 v52, 0x5c0, v255
	s_waitcnt lgkmcnt(0)
	v_dual_mov_b32 v192, v204 :: v_dual_mov_b32 v163, v199
	ds_load_b64 v[244:245], v255 offset:13176
	ds_load_2addr_b64 v[194:197], v52 offset0:5 offset1:248
	v_dual_mov_b32 v193, v205 :: v_dual_mov_b32 v162, v198
.LBB0_3:
	s_or_b32 exec_lo, exec_lo, s0
	scratch_load_b32 v0, off, off           ; 4-byte Folded Reload
	s_waitcnt vmcnt(0)
	v_mad_u64_u32 v[198:199], null, v0, 48, s[10:11]
	s_clause 0x1
	global_load_b128 v[84:87], v[198:199], off offset:1920
	global_load_b128 v[76:79], v[198:199], off offset:1936
	v_add_co_u32 v204, s0, 0x1000, v198
	s_delay_alu instid0(VALU_DEP_1) | instskip(SKIP_1) | instid1(VALU_DEP_1)
	v_add_co_ci_u32_e64 v205, s0, 0, v199, s0
	v_add_co_u32 v88, s0, 0x1350, v198
	v_add_co_ci_u32_e64 v89, s0, 0, v199, s0
	s_waitcnt vmcnt(1) lgkmcnt(9)
	v_mul_f32_e32 v52, v73, v87
	s_waitcnt vmcnt(0) lgkmcnt(7)
	v_mul_f32_e32 v225, v80, v79
	v_mul_f32_e32 v229, v216, v77
	s_delay_alu instid0(VALU_DEP_3)
	v_fma_f32 v222, v72, v86, -v52
	s_clause 0x1
	global_load_b128 v[60:63], v[204:205], off offset:848
	global_load_b128 v[52:55], v[88:89], off offset:32
	v_fmac_f32_e32 v225, v81, v78
	v_fmac_f32_e32 v229, v217, v76
	s_delay_alu instid0(VALU_DEP_1) | instskip(SKIP_4) | instid1(VALU_DEP_3)
	v_sub_f32_e32 v14, v225, v229
	s_waitcnt vmcnt(1)
	v_mul_f32_e32 v246, v74, v63
	v_mul_f32_e32 v223, v72, v87
	;; [unrolled: 1-line block ×3, first 2 shown]
	v_fmac_f32_e32 v246, v75, v62
	s_delay_alu instid0(VALU_DEP_3) | instskip(NEXT) | instid1(VALU_DEP_3)
	v_fmac_f32_e32 v223, v73, v86
	v_fma_f32 v248, v74, v62, -v72
	v_mul_f32_e32 v72, v81, v79
	s_delay_alu instid0(VALU_DEP_1)
	v_fma_f32 v224, v80, v78, -v72
	s_clause 0x1
	global_load_b128 v[72:75], v[88:89], off offset:16
	global_load_b128 v[88:91], v[198:199], off offset:1952
	s_waitcnt vmcnt(2) lgkmcnt(5)
	v_mul_f32_e32 v252, v70, v55
	v_add_co_u32 v198, s0, 0x1f20, v198
	s_delay_alu instid0(VALU_DEP_1) | instskip(NEXT) | instid1(VALU_DEP_3)
	v_add_co_ci_u32_e64 v199, s0, 0, v199, s0
	v_fmac_f32_e32 v252, v71, v54
	s_waitcnt vmcnt(1)
	v_mul_f32_e32 v250, v82, v75
	s_waitcnt vmcnt(0)
	v_mul_f32_e32 v227, v68, v91
	v_dual_mul_f32 v80, v83, v75 :: v_dual_mul_f32 v231, v138, v89
	s_delay_alu instid0(VALU_DEP_3) | instskip(NEXT) | instid1(VALU_DEP_3)
	v_fmac_f32_e32 v250, v83, v74
	v_fmac_f32_e32 v227, v69, v90
	s_delay_alu instid0(VALU_DEP_3) | instskip(NEXT) | instid1(VALU_DEP_4)
	v_fma_f32 v249, v82, v74, -v80
	v_dual_mul_f32 v80, v69, v91 :: v_dual_fmac_f32 v231, v139, v88
	s_delay_alu instid0(VALU_DEP_1) | instskip(SKIP_1) | instid1(VALU_DEP_3)
	v_fma_f32 v226, v68, v90, -v80
	v_mul_f32_e32 v68, v71, v55
	v_add_f32_e32 v237, v223, v231
	s_delay_alu instid0(VALU_DEP_2) | instskip(SKIP_2) | instid1(VALU_DEP_1)
	v_fma_f32 v251, v70, v54, -v68
	s_waitcnt lgkmcnt(1)
	v_mul_f32_e32 v68, v219, v61
	v_fma_f32 v253, v218, v60, -v68
	s_clause 0x1
	global_load_b128 v[80:83], v[204:205], off offset:3872
	global_load_b128 v[68:71], v[198:199], off offset:16
	v_mul_f32_e32 v254, v218, v61
	v_mul_f32_e32 v218, v217, v77
	s_waitcnt vmcnt(1)
	v_mul_f32_e32 v204, v221, v81
	s_waitcnt vmcnt(0)
	v_mul_f32_e32 v217, v190, v69
	v_mul_f32_e32 v205, v220, v81
	s_delay_alu instid0(VALU_DEP_3) | instskip(NEXT) | instid1(VALU_DEP_3)
	v_fma_f32 v204, v220, v80, -v204
	v_fmac_f32_e32 v217, v191, v68
	v_dual_fmac_f32 v254, v219, v60 :: v_dual_mul_f32 v219, v136, v71
	v_fma_f32 v228, v216, v76, -v218
	v_dual_mul_f32 v216, v215, v83 :: v_dual_fmac_f32 v205, v221, v80
	v_mul_f32_e32 v221, v188, v73
	s_delay_alu instid0(VALU_DEP_3) | instskip(NEXT) | instid1(VALU_DEP_3)
	v_dual_fmac_f32 v219, v137, v70 :: v_dual_add_f32 v234, v228, v224
	v_fma_f32 v216, v214, v82, -v216
	s_delay_alu instid0(VALU_DEP_3) | instskip(SKIP_1) | instid1(VALU_DEP_2)
	v_dual_mul_f32 v214, v214, v83 :: v_dual_fmac_f32 v221, v189, v72
	v_dual_add_f32 v238, v229, v225 :: v_dual_sub_f32 v13, v224, v228
	v_dual_add_f32 v11, v217, v219 :: v_dual_fmac_f32 v214, v215, v82
	v_mul_f32_e32 v215, v189, v73
	s_delay_alu instid0(VALU_DEP_4) | instskip(NEXT) | instid1(VALU_DEP_2)
	v_add_f32_e32 v1, v221, v250
	v_fma_f32 v220, v188, v72, -v215
	v_mul_f32_e32 v188, v191, v69
	s_delay_alu instid0(VALU_DEP_2) | instskip(NEXT) | instid1(VALU_DEP_2)
	v_add_f32_e32 v242, v220, v249
	v_fma_f32 v215, v190, v68, -v188
	v_mul_f32_e32 v188, v139, v89
	s_delay_alu instid0(VALU_DEP_1) | instskip(SKIP_1) | instid1(VALU_DEP_1)
	v_fma_f32 v230, v138, v88, -v188
	v_mul_f32_e32 v138, v137, v71
	v_fma_f32 v218, v136, v70, -v138
	v_subrev_nc_u32_e32 v136, 54, v0
	s_delay_alu instid0(VALU_DEP_2) | instskip(NEXT) | instid1(VALU_DEP_2)
	v_dual_add_f32 v240, v253, v251 :: v_dual_add_f32 v7, v215, v218
	v_dual_cndmask_b32 v136, v136, v247 :: v_dual_add_f32 v247, v254, v252
	s_delay_alu instid0(VALU_DEP_1) | instskip(SKIP_1) | instid1(VALU_DEP_2)
	v_mul_i32_i24_e32 v137, 48, v136
	v_mul_hi_i32_i24_e32 v136, 48, v136
	v_add_co_u32 v232, s0, s10, v137
	s_delay_alu instid0(VALU_DEP_1)
	v_add_co_ci_u32_e64 v233, s0, s11, v136, s0
	s_clause 0x1
	global_load_b128 v[188:191], v[198:199], off offset:32
	global_load_b128 v[16:19], v[232:233], off offset:1920
	s_waitcnt lgkmcnt(0)
	v_mul_f32_e32 v136, v211, v53
	v_mul_f32_e32 v137, v210, v53
	s_delay_alu instid0(VALU_DEP_2) | instskip(SKIP_1) | instid1(VALU_DEP_3)
	v_fma_f32 v136, v210, v52, -v136
	v_mul_f32_e32 v198, v167, v85
	v_fmac_f32_e32 v137, v211, v52
	v_mul_f32_e32 v211, v166, v85
	s_delay_alu instid0(VALU_DEP_4) | instskip(NEXT) | instid1(VALU_DEP_4)
	v_add_f32_e32 v241, v248, v136
	v_fma_f32 v210, v166, v84, -v198
	s_delay_alu instid0(VALU_DEP_3) | instskip(SKIP_1) | instid1(VALU_DEP_2)
	v_dual_add_f32 v0, v246, v137 :: v_dual_fmac_f32 v211, v167, v84
	v_dual_sub_f32 v136, v248, v136 :: v_dual_sub_f32 v137, v246, v137
	v_dual_sub_f32 v15, v210, v226 :: v_dual_add_f32 v236, v211, v227
	s_waitcnt vmcnt(1)
	v_mul_f32_e32 v138, v213, v189
	v_mul_f32_e32 v139, v212, v189
	s_delay_alu instid0(VALU_DEP_2) | instskip(NEXT) | instid1(VALU_DEP_2)
	v_fma_f32 v138, v212, v188, -v138
	v_dual_add_f32 v212, v210, v226 :: v_dual_fmac_f32 v139, v213, v188
	v_add_f32_e32 v213, v222, v230
	s_delay_alu instid0(VALU_DEP_3) | instskip(SKIP_1) | instid1(VALU_DEP_4)
	v_dual_mul_f32 v3, v161, v191 :: v_dual_add_f32 v6, v216, v138
	v_mul_f32_e32 v4, v160, v191
	v_add_f32_e32 v10, v214, v139
	s_delay_alu instid0(VALU_DEP_4) | instskip(NEXT) | instid1(VALU_DEP_4)
	v_add_f32_e32 v166, v213, v212
	v_fma_f32 v3, v160, v190, -v3
	s_delay_alu instid0(VALU_DEP_4) | instskip(NEXT) | instid1(VALU_DEP_3)
	v_fmac_f32_e32 v4, v161, v190
	v_dual_add_f32 v2, v0, v247 :: v_dual_add_f32 v235, v234, v166
	s_delay_alu instid0(VALU_DEP_3) | instskip(NEXT) | instid1(VALU_DEP_3)
	v_dual_add_f32 v166, v237, v236 :: v_dual_add_f32 v5, v204, v3
	v_add_f32_e32 v9, v205, v4
	s_delay_alu instid0(VALU_DEP_3) | instskip(NEXT) | instid1(VALU_DEP_3)
	v_add_f32_e32 v2, v1, v2
	v_dual_add_f32 v239, v238, v166 :: v_dual_add_f32 v166, v241, v240
	s_delay_alu instid0(VALU_DEP_2) | instskip(SKIP_2) | instid1(VALU_DEP_3)
	v_dual_add_f32 v160, v6, v5 :: v_dual_add_f32 v199, v209, v2
	v_sub_f32_e32 v209, v213, v212
	v_sub_f32_e32 v213, v234, v213
	v_dual_add_f32 v243, v242, v166 :: v_dual_add_f32 v8, v7, v160
	v_dual_add_f32 v160, v10, v9 :: v_dual_add_f32 v167, v207, v239
	v_sub_f32_e32 v210, v237, v236
	s_delay_alu instid0(VALU_DEP_3) | instskip(NEXT) | instid1(VALU_DEP_3)
	v_add_f32_e32 v198, v208, v243
	v_add_f32_e32 v12, v11, v160
	;; [unrolled: 1-line block ×3, first 2 shown]
	v_sub_f32_e32 v164, v222, v230
	v_add_f32_e32 v166, v206, v235
	s_delay_alu instid0(VALU_DEP_4) | instskip(SKIP_1) | instid1(VALU_DEP_4)
	v_dual_sub_f32 v222, v238, v237 :: v_dual_add_f32 v161, v165, v12
	v_sub_f32_e32 v165, v223, v231
	v_dual_sub_f32 v207, v13, v164 :: v_dual_sub_f32 v208, v211, v227
	v_fmamk_f32 v229, v239, 0xbf955555, v167
	s_delay_alu instid0(VALU_DEP_2) | instskip(NEXT) | instid1(VALU_DEP_3)
	v_mul_f32_e32 v227, 0xbf08b237, v207
	v_dual_sub_f32 v223, v14, v165 :: v_dual_sub_f32 v224, v165, v208
	s_delay_alu instid0(VALU_DEP_1) | instskip(SKIP_1) | instid1(VALU_DEP_1)
	v_mul_f32_e32 v223, 0xbf08b237, v223
	v_sub_f32_e32 v211, v164, v15
	v_fma_f32 v207, 0x3f5ff5aa, v211, -v227
	v_dual_add_f32 v206, v13, v164 :: v_dual_sub_f32 v13, v15, v13
	s_delay_alu instid0(VALU_DEP_1) | instskip(SKIP_2) | instid1(VALU_DEP_3)
	v_add_f32_e32 v225, v206, v15
	v_mul_f32_e32 v15, 0x3f5ff5aa, v211
	v_fma_f32 v206, 0x3f5ff5aa, v224, -v223
	v_fmac_f32_e32 v207, 0x3ee1c552, v225
	v_dual_add_f32 v164, v14, v165 :: v_dual_mul_f32 v165, 0x3d64c772, v222
	s_delay_alu instid0(VALU_DEP_4) | instskip(SKIP_2) | instid1(VALU_DEP_4)
	v_fma_f32 v15, 0xbeae86e6, v13, -v15
	v_dual_sub_f32 v14, v208, v14 :: v_dual_fmamk_f32 v13, v13, 0x3eae86e6, v227
	v_sub_f32_e32 v212, v212, v234
	v_fma_f32 v165, 0x3f3bfb3b, v210, -v165
	v_fmamk_f32 v228, v235, 0xbf955555, v166
	v_fmac_f32_e32 v15, 0x3ee1c552, v225
	v_fmac_f32_e32 v13, 0x3ee1c552, v225
	s_delay_alu instid0(VALU_DEP_4) | instskip(NEXT) | instid1(VALU_DEP_1)
	v_dual_mul_f32 v212, 0x3f4a47b2, v212 :: v_dual_add_f32 v231, v165, v229
	v_add_f32_e32 v165, v207, v231
	v_dual_sub_f32 v207, v231, v207 :: v_dual_add_f32 v226, v164, v208
	v_mul_f32_e32 v164, 0x3d64c772, v213
	v_mul_f32_e32 v208, 0x3f5ff5aa, v224
	s_delay_alu instid0(VALU_DEP_3) | instskip(NEXT) | instid1(VALU_DEP_3)
	v_fmac_f32_e32 v206, 0x3ee1c552, v226
	v_fma_f32 v164, 0x3f3bfb3b, v209, -v164
	s_delay_alu instid0(VALU_DEP_3) | instskip(SKIP_2) | instid1(VALU_DEP_3)
	v_fma_f32 v211, 0xbeae86e6, v14, -v208
	v_fma_f32 v208, 0xbf3bfb3b, v209, -v212
	v_fmamk_f32 v14, v14, 0x3eae86e6, v223
	v_dual_add_f32 v230, v164, v228 :: v_dual_fmac_f32 v211, 0x3ee1c552, v226
	s_delay_alu instid0(VALU_DEP_2) | instskip(NEXT) | instid1(VALU_DEP_2)
	v_fmac_f32_e32 v14, 0x3ee1c552, v226
	v_sub_f32_e32 v164, v230, v206
	v_add_f32_e32 v206, v206, v230
	v_sub_f32_e32 v230, v236, v238
	s_delay_alu instid0(VALU_DEP_1) | instskip(NEXT) | instid1(VALU_DEP_1)
	v_mul_f32_e32 v224, 0x3f4a47b2, v230
	v_fma_f32 v209, 0xbf3bfb3b, v210, -v224
	v_add_f32_e32 v210, v208, v228
	s_delay_alu instid0(VALU_DEP_2) | instskip(NEXT) | instid1(VALU_DEP_2)
	v_add_f32_e32 v230, v209, v229
	v_add_f32_e32 v208, v211, v210
	v_sub_f32_e32 v210, v210, v211
	s_delay_alu instid0(VALU_DEP_3) | instskip(SKIP_2) | instid1(VALU_DEP_1)
	v_sub_f32_e32 v209, v230, v15
	v_add_f32_e32 v211, v15, v230
	v_fmamk_f32 v15, v213, 0x3d64c772, v212
	v_dual_fmamk_f32 v212, v222, 0x3d64c772, v224 :: v_dual_add_f32 v15, v15, v228
	s_delay_alu instid0(VALU_DEP_1) | instskip(NEXT) | instid1(VALU_DEP_1)
	v_dual_add_f32 v223, v212, v229 :: v_dual_add_f32 v212, v14, v15
	v_sub_f32_e32 v213, v223, v13
	v_dual_sub_f32 v222, v15, v14 :: v_dual_add_f32 v223, v13, v223
	ds_store_b64 v255, v[212:213] offset:1944
	ds_store_b64 v255, v[208:209] offset:3888
	ds_store_b64 v255, v[164:165] offset:5832
	ds_store_b64 v255, v[206:207] offset:7776
	ds_store_b64 v255, v[210:211] offset:9720
	ds_store_b64 v255, v[222:223] offset:11664
	ds_store_2addr_b64 v255, v[166:167], v[198:199] offset1:63
	v_dual_fmamk_f32 v13, v243, 0xbf955555, v198 :: v_dual_sub_f32 v198, v249, v220
	v_dual_sub_f32 v206, v242, v241 :: v_dual_sub_f32 v209, v0, v247
	v_sub_f32_e32 v0, v1, v0
	v_sub_f32_e32 v14, v253, v251
	s_delay_alu instid0(VALU_DEP_4) | instskip(SKIP_3) | instid1(VALU_DEP_4)
	v_dual_add_f32 v164, v198, v136 :: v_dual_sub_f32 v1, v247, v1
	v_sub_f32_e32 v165, v198, v136
	v_sub_f32_e32 v208, v241, v240
	;; [unrolled: 1-line block ×3, first 2 shown]
	v_mul_f32_e32 v1, 0x3f4a47b2, v1
	s_delay_alu instid0(VALU_DEP_4) | instskip(SKIP_2) | instid1(VALU_DEP_2)
	v_mul_f32_e32 v207, 0xbf08b237, v165
	v_dual_mul_f32 v165, 0x3d64c772, v0 :: v_dual_add_f32 v210, v164, v14
	v_mul_f32_e32 v164, 0x3d64c772, v206
	v_fma_f32 v165, 0x3f3bfb3b, v209, -v165
	s_delay_alu instid0(VALU_DEP_2) | instskip(SKIP_4) | instid1(VALU_DEP_3)
	v_fma_f32 v164, 0x3f3bfb3b, v208, -v164
	v_fmamk_f32 v2, v2, 0xbf955555, v199
	v_sub_f32_e32 v199, v250, v221
	s_waitcnt vmcnt(0)
	v_mul_f32_e32 v221, v196, v17
	v_dual_add_f32 v213, v164, v13 :: v_dual_add_f32 v220, v165, v2
	s_delay_alu instid0(VALU_DEP_3) | instskip(SKIP_1) | instid1(VALU_DEP_2)
	v_sub_f32_e32 v167, v199, v137
	v_dual_add_f32 v166, v199, v137 :: v_dual_sub_f32 v137, v137, v15
	v_dual_fmac_f32 v221, v197, v16 :: v_dual_mul_f32 v212, 0xbf08b237, v167
	s_delay_alu instid0(VALU_DEP_2) | instskip(SKIP_1) | instid1(VALU_DEP_3)
	v_dual_add_f32 v211, v166, v15 :: v_dual_sub_f32 v136, v136, v14
	v_sub_f32_e32 v15, v15, v199
	v_fma_f32 v166, 0x3f5ff5aa, v137, -v212
	s_delay_alu instid0(VALU_DEP_3) | instskip(NEXT) | instid1(VALU_DEP_2)
	v_fma_f32 v167, 0x3f5ff5aa, v136, -v207
	v_fmac_f32_e32 v166, 0x3ee1c552, v211
	s_delay_alu instid0(VALU_DEP_1) | instskip(SKIP_3) | instid1(VALU_DEP_3)
	v_sub_f32_e32 v164, v213, v166
	v_dual_add_f32 v166, v166, v213 :: v_dual_sub_f32 v213, v240, v242
	v_fmamk_f32 v0, v0, 0x3d64c772, v1
	v_fma_f32 v1, 0xbf3bfb3b, v209, -v1
	v_mul_f32_e32 v213, 0x3f4a47b2, v213
	v_fmac_f32_e32 v167, 0x3ee1c552, v210
	s_delay_alu instid0(VALU_DEP_3) | instskip(SKIP_2) | instid1(VALU_DEP_4)
	v_add_f32_e32 v1, v1, v2
	v_sub_f32_e32 v14, v14, v198
	v_add_f32_e32 v0, v0, v2
	v_dual_sub_f32 v2, v204, v3 :: v_dual_add_f32 v165, v167, v220
	v_dual_fmamk_f32 v198, v206, 0x3d64c772, v213 :: v_dual_sub_f32 v3, v205, v4
	s_delay_alu instid0(VALU_DEP_4) | instskip(NEXT) | instid1(VALU_DEP_2)
	v_dual_fmamk_f32 v207, v14, 0x3eae86e6, v207 :: v_dual_sub_f32 v4, v216, v138
	v_dual_sub_f32 v167, v220, v167 :: v_dual_add_f32 v206, v198, v13
	s_delay_alu instid0(VALU_DEP_2) | instskip(NEXT) | instid1(VALU_DEP_1)
	v_fmac_f32_e32 v207, 0x3ee1c552, v210
	v_sub_f32_e32 v199, v0, v207
	v_add_f32_e32 v207, v207, v0
	v_mul_f32_e32 v0, 0x3f5ff5aa, v136
	s_delay_alu instid0(VALU_DEP_1) | instskip(SKIP_1) | instid1(VALU_DEP_2)
	v_fma_f32 v0, 0xbeae86e6, v14, -v0
	v_mul_f32_e32 v14, 0x3f5ff5aa, v137
	v_fmac_f32_e32 v0, 0x3ee1c552, v210
	v_fmamk_f32 v212, v15, 0x3eae86e6, v212
	s_delay_alu instid0(VALU_DEP_3) | instskip(SKIP_1) | instid1(VALU_DEP_3)
	v_fma_f32 v14, 0xbeae86e6, v15, -v14
	v_fma_f32 v15, 0xbf3bfb3b, v208, -v213
	v_dual_add_f32 v209, v0, v1 :: v_dual_fmac_f32 v212, 0x3ee1c552, v211
	s_delay_alu instid0(VALU_DEP_3) | instskip(SKIP_1) | instid1(VALU_DEP_4)
	v_dual_fmac_f32 v14, 0x3ee1c552, v211 :: v_dual_sub_f32 v211, v1, v0
	v_dual_fmamk_f32 v1, v12, 0xbf955555, v161 :: v_dual_sub_f32 v12, v218, v215
	v_dual_add_f32 v13, v15, v13 :: v_dual_fmamk_f32 v0, v8, 0xbf955555, v160
	v_sub_f32_e32 v15, v9, v11
	v_sub_f32_e32 v11, v11, v10
	s_delay_alu instid0(VALU_DEP_3) | instskip(NEXT) | instid1(VALU_DEP_3)
	v_dual_sub_f32 v137, v12, v4 :: v_dual_sub_f32 v208, v13, v14
	v_dual_add_f32 v210, v14, v13 :: v_dual_mul_f32 v15, 0x3f4a47b2, v15
	v_sub_f32_e32 v13, v219, v217
	s_delay_alu instid0(VALU_DEP_3) | instskip(SKIP_3) | instid1(VALU_DEP_4)
	v_dual_mul_f32 v137, 0xbf08b237, v137 :: v_dual_sub_f32 v8, v214, v139
	v_dual_sub_f32 v14, v5, v7 :: v_dual_sub_f32 v7, v7, v6
	v_add_f32_e32 v198, v212, v206
	v_sub_f32_e32 v206, v206, v212
	v_sub_f32_e32 v139, v13, v8
	ds_store_b64 v255, v[160:161] offset:1008
	ds_store_b64 v255, v[166:167] offset:8280
	;; [unrolled: 1-line block ×6, first 2 shown]
	v_dual_mul_f32 v211, v162, v19 :: v_dual_mul_f32 v14, 0x3f4a47b2, v14
	v_add_nc_u32_e32 v164, 0x800, v255
	v_dual_mul_f32 v139, 0xbf08b237, v139 :: v_dual_add_f32 v136, v12, v4
	s_delay_alu instid0(VALU_DEP_3) | instskip(NEXT) | instid1(VALU_DEP_4)
	v_dual_fmac_f32 v211, v163, v18 :: v_dual_sub_f32 v12, v2, v12
	v_dual_fmamk_f32 v160, v7, 0x3d64c772, v14 :: v_dual_sub_f32 v5, v6, v5
	s_delay_alu instid0(VALU_DEP_3) | instskip(NEXT) | instid1(VALU_DEP_3)
	v_add_f32_e32 v136, v136, v2
	v_dual_fmamk_f32 v207, v12, 0x3eae86e6, v137 :: v_dual_add_f32 v138, v13, v8
	s_delay_alu instid0(VALU_DEP_3) | instskip(SKIP_1) | instid1(VALU_DEP_3)
	v_dual_sub_f32 v13, v3, v13 :: v_dual_add_f32 v208, v160, v0
	v_fmamk_f32 v160, v11, 0x3d64c772, v15
	v_dual_fmac_f32 v207, 0x3ee1c552, v136 :: v_dual_add_f32 v138, v138, v3
	s_delay_alu instid0(VALU_DEP_3) | instskip(NEXT) | instid1(VALU_DEP_1)
	v_dual_fmamk_f32 v206, v13, 0x3eae86e6, v139 :: v_dual_sub_f32 v3, v8, v3
	v_dual_add_f32 v209, v160, v1 :: v_dual_fmac_f32 v206, 0x3ee1c552, v138
	s_delay_alu instid0(VALU_DEP_1) | instskip(NEXT) | instid1(VALU_DEP_2)
	v_sub_f32_e32 v161, v209, v207
	v_dual_add_f32 v207, v207, v209 :: v_dual_add_f32 v160, v206, v208
	ds_store_2addr_b64 v164, v[198:199], v[160:161] offset0:50 offset1:113
	v_mul_f32_e32 v160, v163, v19
	s_delay_alu instid0(VALU_DEP_1)
	v_fma_f32 v210, v162, v18, -v160
	s_clause 0x1
	global_load_b128 v[160:163], v[232:233], off offset:1936
	global_load_b128 v[164:167], v[232:233], off offset:1952
	scratch_store_b128 off, v[16:19], off offset:492 ; 16-byte Folded Spill
	s_waitcnt vmcnt(0)
	v_dual_mul_f32 v198, v201, v161 :: v_dual_mul_f32 v219, v244, v167
	v_mul_f32_e32 v213, v200, v161
	v_mul_f32_e32 v217, v192, v165
	;; [unrolled: 1-line block ×3, first 2 shown]
	s_delay_alu instid0(VALU_DEP_4)
	v_fma_f32 v212, v200, v160, -v198
	v_fmac_f32_e32 v219, v245, v166
	v_sub_f32_e32 v2, v4, v2
	v_dual_mul_f32 v198, v203, v163 :: v_dual_fmac_f32 v213, v201, v160
	v_mul_f32_e32 v4, 0x3d64c772, v7
	v_mul_f32_e32 v7, 0x3d64c772, v11
	s_delay_alu instid0(VALU_DEP_4)
	v_fma_f32 v8, 0x3f5ff5aa, v2, -v137
	v_mul_f32_e32 v2, 0x3f5ff5aa, v2
	v_fma_f32 v214, v202, v162, -v198
	v_mul_f32_e32 v198, v193, v165
	v_fmac_f32_e32 v217, v193, v164
	v_fmac_f32_e32 v215, v203, v162
	v_fma_f32 v2, 0xbeae86e6, v12, -v2
	v_fmac_f32_e32 v8, 0x3ee1c552, v136
	v_fma_f32 v216, v192, v164, -v198
	s_delay_alu instid0(VALU_DEP_3) | instskip(SKIP_2) | instid1(VALU_DEP_4)
	v_dual_add_f32 v201, v211, v217 :: v_dual_fmac_f32 v2, 0x3ee1c552, v136
	v_sub_f32_e32 v6, v10, v9
	v_fma_f32 v9, 0x3f5ff5aa, v3, -v139
	v_dual_mul_f32 v192, v245, v167 :: v_dual_add_f32 v199, v210, v216
	v_mul_f32_e32 v3, 0x3f5ff5aa, v3
	s_delay_alu instid0(VALU_DEP_4) | instskip(NEXT) | instid1(VALU_DEP_4)
	v_fma_f32 v7, 0x3f3bfb3b, v6, -v7
	v_fmac_f32_e32 v9, 0x3ee1c552, v138
	s_delay_alu instid0(VALU_DEP_4)
	v_fma_f32 v218, v244, v166, -v192
	v_add_f32_e32 v222, v212, v214
	v_fma_f32 v3, 0xbeae86e6, v13, -v3
	v_add_f32_e32 v7, v7, v1
	v_mul_f32_e32 v192, v197, v17
	v_add_f32_e32 v200, v221, v219
	s_delay_alu instid0(VALU_DEP_4) | instskip(NEXT) | instid1(VALU_DEP_4)
	v_dual_add_f32 v224, v213, v215 :: v_dual_fmac_f32 v3, 0x3ee1c552, v138
	v_sub_f32_e32 v197, v7, v8
	s_delay_alu instid0(VALU_DEP_4) | instskip(NEXT) | instid1(VALU_DEP_1)
	v_fma_f32 v220, v196, v16, -v192
	v_add_f32_e32 v198, v220, v218
	v_sub_f32_e32 v209, v220, v218
	v_fma_f32 v4, 0x3f3bfb3b, v5, -v4
	s_delay_alu instid0(VALU_DEP_3) | instskip(NEXT) | instid1(VALU_DEP_2)
	v_add_f32_e32 v192, v199, v198
	v_add_f32_e32 v4, v4, v0
	s_delay_alu instid0(VALU_DEP_2) | instskip(SKIP_1) | instid1(VALU_DEP_3)
	v_add_f32_e32 v223, v222, v192
	v_add_f32_e32 v192, v201, v200
	;; [unrolled: 1-line block ×3, first 2 shown]
	s_delay_alu instid0(VALU_DEP_2) | instskip(SKIP_3) | instid1(VALU_DEP_4)
	v_dual_add_f32 v225, v224, v192 :: v_dual_add_f32 v192, v194, v223
	v_sub_f32_e32 v194, v4, v9
	v_fma_f32 v4, 0xbf3bfb3b, v5, -v14
	v_fma_f32 v5, 0xbf3bfb3b, v6, -v15
	v_dual_add_f32 v193, v195, v225 :: v_dual_sub_f32 v210, v210, v216
	s_delay_alu instid0(VALU_DEP_2) | instskip(SKIP_1) | instid1(VALU_DEP_2)
	v_dual_add_f32 v0, v4, v0 :: v_dual_add_f32 v1, v5, v1
	v_sub_f32_e32 v206, v208, v206
	v_dual_sub_f32 v204, v0, v3 :: v_dual_sub_f32 v203, v1, v2
	v_add_f32_e32 v205, v2, v1
	v_sub_f32_e32 v2, v198, v222
	v_add_f32_e32 v202, v3, v0
	v_dual_sub_f32 v0, v214, v212 :: v_dual_sub_f32 v1, v215, v213
	v_add_f32_e32 v195, v8, v7
	v_sub_f32_e32 v3, v200, v224
	v_mul_f32_e32 v213, 0x3f4a47b2, v2
	ds_store_b64 v255, v[202:203] offset:4896
	ds_store_b64 v255, v[194:195] offset:6840
	;; [unrolled: 1-line block ×5, first 2 shown]
	v_dual_fmamk_f32 v207, v225, 0xbf955555, v193 :: v_dual_sub_f32 v206, v211, v217
	v_dual_sub_f32 v217, v222, v199 :: v_dual_add_f32 v4, v0, v210
	v_sub_f32_e32 v212, v0, v210
	v_sub_f32_e32 v0, v209, v0
	;; [unrolled: 1-line block ×3, first 2 shown]
	v_mul_f32_e32 v214, 0x3f4a47b2, v3
	v_fmamk_f32 v205, v223, 0xbf955555, v192
	s_delay_alu instid0(VALU_DEP_4) | instskip(SKIP_1) | instid1(VALU_DEP_2)
	v_dual_sub_f32 v203, v221, v219 :: v_dual_mul_f32 v216, 0x3eae86e6, v0
	v_dual_fmamk_f32 v0, v217, 0x3d64c772, v213 :: v_dual_add_f32 v219, v4, v209
	v_fmamk_f32 v204, v212, 0xbf08b237, v216
	s_delay_alu instid0(VALU_DEP_2) | instskip(SKIP_1) | instid1(VALU_DEP_3)
	v_add_f32_e32 v194, v0, v205
	v_fmamk_f32 v0, v218, 0x3d64c772, v214
	v_fmac_f32_e32 v204, 0x3ee1c552, v219
	s_delay_alu instid0(VALU_DEP_2) | instskip(SKIP_2) | instid1(VALU_DEP_2)
	v_add_f32_e32 v195, v0, v207
	v_add_f32_e32 v5, v1, v206
	v_dual_sub_f32 v208, v1, v206 :: v_dual_sub_f32 v1, v203, v1
	v_add_f32_e32 v215, v5, v203
	s_delay_alu instid0(VALU_DEP_2) | instskip(SKIP_1) | instid1(VALU_DEP_2)
	v_mul_f32_e32 v211, 0x3eae86e6, v1
	v_add_f32_e32 v1, v204, v195
	v_fmamk_f32 v202, v208, 0xbf08b237, v211
	s_delay_alu instid0(VALU_DEP_1) | instskip(NEXT) | instid1(VALU_DEP_1)
	v_fmac_f32_e32 v202, 0x3ee1c552, v215
	v_sub_f32_e32 v0, v194, v202
	scratch_store_b64 off, v[0:1], off offset:4 ; 8-byte Folded Spill
	s_and_saveexec_b32 s0, vcc_lo
	s_cbranch_execz .LBB0_5
; %bb.4:
	v_dual_mul_f32 v2, 0x3ee1c552, v219 :: v_dual_sub_f32 v3, v210, v209
	v_dual_sub_f32 v4, v201, v200 :: v_dual_sub_f32 v5, v199, v198
	v_dual_mul_f32 v0, 0x3d64c772, v217 :: v_dual_mul_f32 v1, 0x3d64c772, v218
	s_delay_alu instid0(VALU_DEP_3) | instskip(NEXT) | instid1(VALU_DEP_3)
	v_fma_f32 v8, 0xbf5ff5aa, v3, -v216
	v_fma_f32 v9, 0xbf3bfb3b, v4, -v214
	s_delay_alu instid0(VALU_DEP_4) | instskip(SKIP_2) | instid1(VALU_DEP_4)
	v_fma_f32 v10, 0xbf3bfb3b, v5, -v213
	v_mul_f32_e32 v7, 0xbf08b237, v212
	v_dual_sub_f32 v11, v206, v203 :: v_dual_mul_f32 v12, 0xbf08b237, v208
	v_dual_add_f32 v8, v2, v8 :: v_dual_add_f32 v9, v9, v207
	v_mul_f32_e32 v6, 0x3ee1c552, v215
	v_add_f32_e32 v10, v10, v205
	s_delay_alu instid0(VALU_DEP_4)
	v_fma_f32 v13, 0xbf5ff5aa, v11, -v211
	v_fma_f32 v1, 0x3f3bfb3b, v4, -v1
	v_add_f32_e32 v197, v8, v9
	v_fma_f32 v3, 0x3f5ff5aa, v3, -v7
	v_fma_f32 v4, 0x3f5ff5aa, v11, -v12
	;; [unrolled: 1-line block ×3, first 2 shown]
	v_add_f32_e32 v1, v1, v207
	v_dual_sub_f32 v195, v195, v204 :: v_dual_add_f32 v194, v202, v194
	v_add_f32_e32 v2, v2, v3
	s_delay_alu instid0(VALU_DEP_4) | instskip(SKIP_1) | instid1(VALU_DEP_2)
	v_dual_add_f32 v3, v6, v4 :: v_dual_add_f32 v0, v0, v205
	v_dual_add_f32 v5, v6, v13 :: v_dual_sub_f32 v206, v9, v8
	v_add_f32_e32 v198, v3, v0
	s_delay_alu instid0(VALU_DEP_2)
	v_dual_sub_f32 v200, v0, v3 :: v_dual_add_f32 v205, v5, v10
	v_dual_add_f32 v201, v2, v1 :: v_dual_add_nc_u32 v0, 0x5c0, v255
	v_dual_sub_f32 v196, v10, v5 :: v_dual_sub_f32 v199, v1, v2
	v_add_nc_u32_e32 v1, 0x1500, v255
	v_add_nc_u32_e32 v2, 0x2400, v255
	ds_store_2addr_b64 v0, v[192:193], v[194:195] offset0:5 offset1:248
	ds_store_2addr_b64 v1, v[205:206], v[200:201] offset0:3 offset1:246
	;; [unrolled: 1-line block ×3, first 2 shown]
	scratch_load_b64 v[0:1], off, off offset:4 ; 8-byte Folded Reload
	s_waitcnt vmcnt(0)
	ds_store_b64 v255, v[0:1] offset:13176
.LBB0_5:
	s_or_b32 exec_lo, exec_lo, s0
	scratch_load_b32 v0, off, off           ; 4-byte Folded Reload
	s_waitcnt vmcnt(0) lgkmcnt(0)
	s_waitcnt_vscnt null, 0x0
	s_barrier
	buffer_gl0_inv
	v_add_nc_u32_e32 v254, 0x1400, v255
	v_add_nc_u32_e32 v208, 0x2c00, v255
	;; [unrolled: 1-line block ×3, first 2 shown]
	v_lshlrev_b32_e32 v0, 3, v0
	s_delay_alu instid0(VALU_DEP_1) | instskip(NEXT) | instid1(VALU_DEP_1)
	v_add_co_u32 v192, s0, s8, v0
	v_add_co_ci_u32_e64 v193, null, s9, 0, s0
	s_delay_alu instid0(VALU_DEP_2) | instskip(NEXT) | instid1(VALU_DEP_1)
	v_add_co_u32 v194, s0, 0x3000, v192
	v_add_co_ci_u32_e64 v195, s0, 0, v193, s0
	v_add_co_u32 v196, s0, 0x4000, v192
	s_delay_alu instid0(VALU_DEP_1)
	v_add_co_ci_u32_e64 v197, s0, 0, v193, s0
	s_clause 0x2
	global_load_b64 v[194:195], v[194:195], off offset:1320
	global_load_b64 v[206:207], v[196:197], off offset:2768
	;; [unrolled: 1-line block ×3, first 2 shown]
	ds_load_2addr_b64 v[198:201], v255 offset1:63
	v_add_co_u32 v211, s0, 0x3528, v192
	s_delay_alu instid0(VALU_DEP_1) | instskip(SKIP_1) | instid1(VALU_DEP_1)
	v_add_co_ci_u32_e64 v212, s0, 0, v193, s0
	v_add_co_u32 v221, s0, 0x5000, v192
	v_add_co_ci_u32_e64 v222, s0, 0, v193, s0
	s_waitcnt vmcnt(2) lgkmcnt(0)
	v_mul_f32_e32 v203, v198, v195
	v_mul_f32_e32 v0, v199, v195
	s_delay_alu instid0(VALU_DEP_2) | instskip(NEXT) | instid1(VALU_DEP_2)
	v_fmac_f32_e32 v203, v199, v194
	v_fma_f32 v202, v198, v194, -v0
	s_clause 0x3
	global_load_b64 v[194:195], v[211:212], off offset:504
	global_load_b64 v[213:214], v[211:212], off offset:1008
	;; [unrolled: 1-line block ×4, first 2 shown]
	v_add_nc_u32_e32 v199, 0x2000, v255
	v_add_nc_u32_e32 v198, 0x800, v255
	s_waitcnt vmcnt(3)
	v_mul_f32_e32 v0, v201, v195
	v_mul_f32_e32 v220, v200, v195
	ds_store_b64 v255, v[202:203]
	v_fma_f32 v219, v200, v194, -v0
	v_fmac_f32_e32 v220, v201, v194
	s_clause 0x2
	global_load_b64 v[194:195], v[221:222], off offset:2200
	global_load_b64 v[204:205], v[221:222], off offset:2704
	global_load_b64 v[223:224], v[221:222], off offset:1696
	ds_load_2addr_b64 v[200:203], v199 offset0:110 offset1:173
	s_waitcnt vmcnt(2) lgkmcnt(0)
	v_mul_f32_e32 v0, v201, v195
	v_mul_f32_e32 v226, v200, v195
	s_waitcnt vmcnt(1)
	v_mul_f32_e32 v228, v202, v205
	s_delay_alu instid0(VALU_DEP_3) | instskip(NEXT) | instid1(VALU_DEP_3)
	v_fma_f32 v225, v200, v194, -v0
	v_dual_fmac_f32 v226, v201, v194 :: v_dual_add_nc_u32 v201, 0x1000, v255
	global_load_b64 v[194:195], v[196:197], off offset:2264
	v_mul_f32_e32 v0, v203, v205
	v_fmac_f32_e32 v228, v203, v204
	v_add_nc_u32_e32 v200, 0x2400, v255
	s_delay_alu instid0(VALU_DEP_3) | instskip(SKIP_3) | instid1(VALU_DEP_1)
	v_fma_f32 v227, v202, v204, -v0
	ds_load_2addr_b64 v[202:205], v201 offset0:118 offset1:181
	s_waitcnt lgkmcnt(0)
	v_mul_f32_e32 v232, v204, v207
	v_fmac_f32_e32 v232, v205, v206
	s_waitcnt vmcnt(0)
	v_mul_f32_e32 v0, v203, v195
	v_mul_f32_e32 v230, v202, v195
	s_delay_alu instid0(VALU_DEP_2) | instskip(SKIP_1) | instid1(VALU_DEP_3)
	v_fma_f32 v229, v202, v194, -v0
	v_mul_f32_e32 v0, v205, v207
	v_fmac_f32_e32 v230, v203, v194
	s_delay_alu instid0(VALU_DEP_2) | instskip(SKIP_4) | instid1(VALU_DEP_2)
	v_fma_f32 v231, v204, v206, -v0
	ds_load_2addr_b64 v[202:205], v255 offset0:126 offset1:189
	s_waitcnt lgkmcnt(0)
	v_mul_f32_e32 v0, v203, v214
	v_dual_mul_f32 v207, v202, v214 :: v_dual_mul_f32 v214, v204, v216
	v_fma_f32 v206, v202, v213, -v0
	s_delay_alu instid0(VALU_DEP_2) | instskip(NEXT) | instid1(VALU_DEP_3)
	v_dual_mul_f32 v0, v205, v216 :: v_dual_fmac_f32 v207, v203, v213
	v_fmac_f32_e32 v214, v205, v215
	s_delay_alu instid0(VALU_DEP_2) | instskip(SKIP_1) | instid1(VALU_DEP_1)
	v_fma_f32 v213, v204, v215, -v0
	v_add_co_u32 v204, s0, 0x6000, v192
	v_add_co_ci_u32_e64 v205, s0, 0, v193, s0
	s_clause 0x3
	global_load_b64 v[202:203], v[221:222], off offset:3208
	global_load_b64 v[215:216], v[221:222], off offset:3712
	;; [unrolled: 1-line block ×4, first 2 shown]
	ds_load_2addr_b64 v[192:195], v200 offset0:108 offset1:171
	s_waitcnt vmcnt(3) lgkmcnt(0)
	v_mul_f32_e32 v0, v193, v203
	v_mul_f32_e32 v238, v192, v203
	s_waitcnt vmcnt(2)
	v_mul_f32_e32 v240, v194, v216
	s_delay_alu instid0(VALU_DEP_3) | instskip(NEXT) | instid1(VALU_DEP_3)
	v_fma_f32 v237, v192, v202, -v0
	v_fmac_f32_e32 v238, v193, v202
	s_clause 0x1
	global_load_b64 v[202:203], v[196:197], off offset:3272
	global_load_b64 v[196:197], v[196:197], off offset:3776
	v_mul_f32_e32 v0, v195, v216
	v_fmac_f32_e32 v240, v195, v215
	s_delay_alu instid0(VALU_DEP_2)
	v_fma_f32 v239, v194, v215, -v0
	s_clause 0x1
	global_load_b64 v[215:216], v[221:222], off offset:184
	global_load_b64 v[244:245], v[221:222], off offset:688
	ds_load_2addr_b64 v[192:195], v254 offset0:116 offset1:179
	s_waitcnt vmcnt(3) lgkmcnt(0)
	v_mul_f32_e32 v0, v193, v203
	v_mul_f32_e32 v247, v192, v203
	s_waitcnt vmcnt(2)
	v_mul_f32_e32 v249, v194, v197
	v_add_nc_u32_e32 v203, 0x1800, v255
	v_fma_f32 v246, v192, v202, -v0
	v_dual_mul_f32 v0, v195, v197 :: v_dual_fmac_f32 v247, v193, v202
	s_delay_alu instid0(VALU_DEP_4) | instskip(NEXT) | instid1(VALU_DEP_2)
	v_dual_fmac_f32 v249, v195, v196 :: v_dual_add_nc_u32 v202, 0x2800, v255
	v_fma_f32 v248, v194, v196, -v0
	v_add_nc_u32_e32 v0, 0x400, v255
	ds_load_2addr_b64 v[192:195], v0 offset0:124 offset1:187
	s_waitcnt lgkmcnt(0)
	v_dual_mov_b32 v3, v0 :: v_dual_mul_f32 v0, v193, v218
	v_mul_f32_e32 v197, v192, v218
	s_delay_alu instid0(VALU_DEP_2) | instskip(NEXT) | instid1(VALU_DEP_2)
	v_fma_f32 v196, v192, v217, -v0
	v_fmac_f32_e32 v197, v193, v217
	s_clause 0x3
	global_load_b64 v[192:193], v[211:212], off offset:2520
	global_load_b64 v[217:218], v[211:212], off offset:3024
	;; [unrolled: 1-line block ×4, first 2 shown]
	s_waitcnt vmcnt(3)
	v_mul_f32_e32 v0, v195, v193
	v_mul_f32_e32 v243, v194, v193
	s_delay_alu instid0(VALU_DEP_2) | instskip(NEXT) | instid1(VALU_DEP_2)
	v_fma_f32 v242, v194, v192, -v0
	v_fmac_f32_e32 v243, v195, v192
	ds_load_2addr_b64 v[192:195], v202 offset0:106 offset1:169
	s_waitcnt lgkmcnt(0)
	v_mul_f32_e32 v0, v193, v234
	v_dual_mul_f32 v253, v192, v234 :: v_dual_mul_f32 v234, v194, v236
	s_delay_alu instid0(VALU_DEP_2) | instskip(NEXT) | instid1(VALU_DEP_2)
	v_fma_f32 v252, v192, v233, -v0
	v_dual_mul_f32 v0, v195, v236 :: v_dual_fmac_f32 v253, v193, v233
	s_delay_alu instid0(VALU_DEP_3) | instskip(NEXT) | instid1(VALU_DEP_2)
	v_fmac_f32_e32 v234, v195, v235
	v_fma_f32 v233, v194, v235, -v0
	ds_load_2addr_b64 v[192:195], v203 offset0:114 offset1:177
	s_waitcnt lgkmcnt(0)
	v_mul_f32_e32 v0, v193, v216
	v_mul_f32_e32 v236, v192, v216
	;; [unrolled: 1-line block ×3, first 2 shown]
	s_delay_alu instid0(VALU_DEP_3) | instskip(SKIP_1) | instid1(VALU_DEP_4)
	v_fma_f32 v235, v192, v215, -v0
	v_mul_f32_e32 v0, v195, v245
	v_fmac_f32_e32 v236, v193, v215
	s_delay_alu instid0(VALU_DEP_4) | instskip(NEXT) | instid1(VALU_DEP_3)
	v_fmac_f32_e32 v216, v195, v244
	v_fma_f32 v215, v194, v244, -v0
	ds_load_2addr_b64 v[192:195], v198 offset0:122 offset1:185
	s_waitcnt vmcnt(2) lgkmcnt(0)
	v_mul_f32_e32 v0, v193, v218
	s_waitcnt vmcnt(1)
	v_dual_mul_f32 v245, v192, v218 :: v_dual_mul_f32 v218, v194, v251
	s_delay_alu instid0(VALU_DEP_2) | instskip(NEXT) | instid1(VALU_DEP_2)
	v_fma_f32 v244, v192, v217, -v0
	v_dual_mul_f32 v0, v195, v251 :: v_dual_fmac_f32 v245, v193, v217
	s_delay_alu instid0(VALU_DEP_3) | instskip(NEXT) | instid1(VALU_DEP_2)
	v_fmac_f32_e32 v218, v195, v250
	v_fma_f32 v217, v194, v250, -v0
	s_clause 0x2
	global_load_b64 v[250:251], v[204:205], off offset:1128
	global_load_b64 v[136:137], v[204:205], off offset:1632
	;; [unrolled: 1-line block ×3, first 2 shown]
	ds_load_2addr_b64 v[192:195], v208 offset0:104 offset1:167
	s_waitcnt vmcnt(2) lgkmcnt(0)
	v_mul_f32_e32 v0, v193, v251
	v_mul_f32_e32 v205, v192, v251
	s_waitcnt vmcnt(1)
	v_mul_f32_e32 v251, v194, v137
	s_delay_alu instid0(VALU_DEP_3) | instskip(NEXT) | instid1(VALU_DEP_3)
	v_fma_f32 v204, v192, v250, -v0
	v_dual_mul_f32 v0, v195, v137 :: v_dual_fmac_f32 v205, v193, v250
	s_delay_alu instid0(VALU_DEP_3) | instskip(NEXT) | instid1(VALU_DEP_2)
	v_fmac_f32_e32 v251, v195, v136
	v_fma_f32 v250, v194, v136, -v0
	ds_load_2addr_b64 v[192:195], v241 offset0:120 offset1:183
	s_waitcnt lgkmcnt(0)
	v_mul_f32_e32 v0, v195, v210
	v_dual_mul_f32 v137, v194, v210 :: v_dual_mul_f32 v210, v192, v212
	s_delay_alu instid0(VALU_DEP_2) | instskip(NEXT) | instid1(VALU_DEP_2)
	v_fma_f32 v136, v194, v209, -v0
	v_dual_mul_f32 v0, v193, v212 :: v_dual_fmac_f32 v137, v195, v209
	s_delay_alu instid0(VALU_DEP_3) | instskip(NEXT) | instid1(VALU_DEP_2)
	v_fmac_f32_e32 v210, v193, v211
	v_fma_f32 v209, v192, v211, -v0
	global_load_b64 v[211:212], v[221:222], off offset:1192
	v_add_nc_u32_e32 v0, 0x1c00, v255
	ds_load_2addr_b64 v[192:195], v0 offset0:112 offset1:175
	v_mov_b32_e32 v2, v0
	s_waitcnt vmcnt(0) lgkmcnt(0)
	v_mul_f32_e32 v0, v193, v212
	v_mul_f32_e32 v222, v192, v212
	s_delay_alu instid0(VALU_DEP_2) | instskip(NEXT) | instid1(VALU_DEP_2)
	v_fma_f32 v221, v192, v211, -v0
	v_fmac_f32_e32 v222, v193, v211
	v_mul_f32_e32 v0, v195, v224
	v_mul_f32_e32 v193, v194, v224
	s_delay_alu instid0(VALU_DEP_2) | instskip(NEXT) | instid1(VALU_DEP_2)
	v_fma_f32 v192, v194, v223, -v0
	v_fmac_f32_e32 v193, v195, v223
	ds_load_b64 v[194:195], v255 offset:13104
	s_waitcnt lgkmcnt(0)
	v_mul_f32_e32 v0, v195, v139
	v_mul_f32_e32 v212, v194, v139
	s_delay_alu instid0(VALU_DEP_2) | instskip(NEXT) | instid1(VALU_DEP_2)
	v_fma_f32 v211, v194, v138, -v0
	v_fmac_f32_e32 v212, v195, v138
	v_add_nc_u32_e32 v0, 0x3000, v255
	ds_store_2addr_b64 v0, v[250:251], v[211:212] offset0:39 offset1:102
	ds_store_2addr_b64 v201, v[136:137], v[229:230] offset0:55 offset1:118
	;; [unrolled: 1-line block ×13, first 2 shown]
	s_waitcnt lgkmcnt(0)
	s_barrier
	buffer_gl0_inv
	ds_load_2addr_b64 v[192:195], v241 offset0:120 offset1:183
	ds_load_2addr_b64 v[209:212], v199 offset0:110 offset1:173
	ds_load_2addr_b64 v[213:216], v255 offset1:63
	s_waitcnt lgkmcnt(1)
	v_dual_mov_b32 v243, v3 :: v_dual_add_f32 v0, v194, v209
	v_add_f32_e32 v1, v195, v210
	s_waitcnt lgkmcnt(0)
	s_delay_alu instid0(VALU_DEP_2) | instskip(SKIP_1) | instid1(VALU_DEP_3)
	v_fma_f32 v136, -0.5, v0, v213
	v_add_f32_e32 v0, v213, v194
	v_fma_f32 v137, -0.5, v1, v214
	s_delay_alu instid0(VALU_DEP_2) | instskip(SKIP_1) | instid1(VALU_DEP_2)
	v_dual_add_f32 v1, v214, v195 :: v_dual_add_f32 v138, v0, v209
	v_sub_f32_e32 v0, v195, v210
	v_add_f32_e32 v139, v1, v210
	s_delay_alu instid0(VALU_DEP_2)
	v_fmamk_f32 v213, v0, 0xbf5db3d7, v136
	v_fmac_f32_e32 v136, 0x3f5db3d7, v0
	v_sub_f32_e32 v0, v194, v209
	ds_load_b64 v[209:210], v255 offset:13104
	ds_load_2addr_b64 v[217:220], v201 offset0:118 offset1:181
	ds_load_2addr_b64 v[221:224], v255 offset0:126 offset1:189
	;; [unrolled: 1-line block ×5, first 2 shown]
	s_waitcnt lgkmcnt(4)
	v_add_f32_e32 v1, v216, v218
	v_sub_f32_e32 v3, v217, v211
	s_waitcnt lgkmcnt(2)
	v_sub_f32_e32 v5, v219, v225
	ds_load_2addr_b64 v[229:232], v202 offset0:106 offset1:169
	ds_load_2addr_b64 v[233:236], v203 offset0:114 offset1:177
	;; [unrolled: 1-line block ×5, first 2 shown]
	s_waitcnt lgkmcnt(0)
	s_barrier
	buffer_gl0_inv
	scratch_load_b32 v4, off, off offset:236 ; 4-byte Folded Reload
	v_fmamk_f32 v214, v0, 0x3f5db3d7, v137
	v_dual_fmac_f32 v137, 0xbf5db3d7, v0 :: v_dual_add_f32 v0, v215, v217
	v_mov_b32_e32 v242, v2
	v_add_f32_e32 v2, v218, v212
	s_delay_alu instid0(VALU_DEP_1)
	v_fmac_f32_e32 v216, -0.5, v2
	v_add_f32_e32 v2, v220, v226
	s_waitcnt vmcnt(0)
	ds_store_2addr_b64 v4, v[138:139], v[213:214] offset1:1
	ds_store_b64 v4, v[136:137] offset:16
	v_add_f32_e32 v138, v0, v211
	v_add_f32_e32 v0, v217, v211
	v_add_f32_e32 v139, v1, v212
	v_sub_f32_e32 v1, v218, v212
	v_fmamk_f32 v137, v3, 0x3f5db3d7, v216
	v_fmac_f32_e32 v216, 0xbf5db3d7, v3
	v_fma_f32 v215, -0.5, v0, v215
	scratch_load_b32 v0, off, off offset:488 ; 4-byte Folded Reload
	v_dual_add_f32 v4, v222, v220 :: v_dual_sub_f32 v3, v220, v226
	v_fmamk_f32 v136, v1, 0xbf5db3d7, v215
	v_fmac_f32_e32 v215, 0x3f5db3d7, v1
	v_add_f32_e32 v1, v219, v225
	s_waitcnt vmcnt(0)
	ds_store_2addr_b64 v0, v[138:139], v[136:137] offset1:1
	ds_store_b64 v0, v[215:216] offset:16
	v_add_f32_e32 v139, v4, v226
	scratch_load_b32 v4, off, off offset:480 ; 4-byte Folded Reload
	v_add_f32_e32 v0, v221, v219
	v_fma_f32 v136, -0.5, v1, v221
	v_fma_f32 v137, -0.5, v2, v222
	v_dual_add_f32 v1, v224, v245 :: v_dual_add_f32 v2, v245, v228
	s_delay_alu instid0(VALU_DEP_3) | instskip(NEXT) | instid1(VALU_DEP_3)
	v_dual_add_f32 v138, v0, v225 :: v_dual_fmamk_f32 v211, v3, 0xbf5db3d7, v136
	v_fmamk_f32 v212, v5, 0x3f5db3d7, v137
	v_add_f32_e32 v0, v223, v244
	v_fmac_f32_e32 v136, 0x3f5db3d7, v3
	v_fmac_f32_e32 v137, 0xbf5db3d7, v5
	v_dual_sub_f32 v3, v244, v227 :: v_dual_fmac_f32 v224, -0.5, v2
	v_dual_add_f32 v2, v247, v230 :: v_dual_sub_f32 v5, v246, v229
	s_waitcnt vmcnt(0)
	ds_store_2addr_b64 v4, v[138:139], v[211:212] offset1:1
	ds_store_b64 v4, v[136:137] offset:16
	v_add_f32_e32 v138, v0, v227
	v_dual_add_f32 v0, v244, v227 :: v_dual_add_f32 v139, v1, v228
	v_sub_f32_e32 v1, v245, v228
	v_fmamk_f32 v137, v3, 0x3f5db3d7, v224
	v_fmac_f32_e32 v224, 0xbf5db3d7, v3
	s_delay_alu instid0(VALU_DEP_4)
	v_fma_f32 v223, -0.5, v0, v223
	scratch_load_b32 v0, off, off offset:484 ; 4-byte Folded Reload
	v_dual_sub_f32 v4, v247, v230 :: v_dual_add_f32 v3, v249, v247
	v_fmamk_f32 v136, v1, 0xbf5db3d7, v223
	v_fmac_f32_e32 v223, 0x3f5db3d7, v1
	v_add_f32_e32 v1, v246, v229
	s_waitcnt vmcnt(0)
	ds_store_2addr_b64 v0, v[138:139], v[136:137] offset1:1
	ds_store_b64 v0, v[223:224] offset:16
	v_fma_f32 v136, -0.5, v1, v248
	v_add_f32_e32 v0, v248, v246
	v_fma_f32 v137, -0.5, v2, v249
	v_add_f32_e32 v139, v3, v230
	v_add_f32_e32 v1, v251, v234
	v_fmamk_f32 v211, v4, 0xbf5db3d7, v136
	v_fmac_f32_e32 v136, 0x3f5db3d7, v4
	scratch_load_b32 v4, off, off offset:472 ; 4-byte Folded Reload
	v_add_f32_e32 v138, v0, v229
	v_fmamk_f32 v212, v5, 0x3f5db3d7, v137
	v_add_f32_e32 v0, v250, v233
	v_dual_fmac_f32 v137, 0xbf5db3d7, v5 :: v_dual_add_f32 v2, v234, v232
	v_sub_f32_e32 v3, v233, v231
	v_sub_f32_e32 v5, v235, v204
	s_delay_alu instid0(VALU_DEP_3)
	v_dual_fmac_f32 v251, -0.5, v2 :: v_dual_add_f32 v2, v236, v205
	s_waitcnt vmcnt(0)
	ds_store_2addr_b64 v4, v[138:139], v[211:212] offset1:1
	ds_store_b64 v4, v[136:137] offset:16
	v_add_f32_e32 v138, v0, v231
	v_add_f32_e32 v0, v233, v231
	;; [unrolled: 1-line block ×3, first 2 shown]
	v_sub_f32_e32 v1, v234, v232
	v_fmamk_f32 v137, v3, 0x3f5db3d7, v251
	v_fmac_f32_e32 v251, 0xbf5db3d7, v3
	v_fma_f32 v250, -0.5, v0, v250
	scratch_load_b32 v0, off, off offset:476 ; 4-byte Folded Reload
	v_dual_sub_f32 v4, v236, v205 :: v_dual_add_f32 v3, v238, v236
	v_fmamk_f32 v136, v1, 0xbf5db3d7, v250
	v_dual_fmac_f32 v250, 0x3f5db3d7, v1 :: v_dual_add_f32 v1, v235, v204
	s_waitcnt vmcnt(0)
	ds_store_2addr_b64 v0, v[138:139], v[136:137] offset1:1
	ds_store_b64 v0, v[250:251] offset:16
	v_add_f32_e32 v0, v237, v235
	v_fma_f32 v136, -0.5, v1, v237
	v_fma_f32 v137, -0.5, v2, v238
	v_add_f32_e32 v139, v3, v205
	v_add_f32_e32 v1, v240, v195
	;; [unrolled: 1-line block ×3, first 2 shown]
	v_fmamk_f32 v204, v4, 0xbf5db3d7, v136
	v_fmac_f32_e32 v136, 0x3f5db3d7, v4
	scratch_load_b32 v4, off, off offset:464 ; 4-byte Folded Reload
	v_dual_fmamk_f32 v205, v5, 0x3f5db3d7, v137 :: v_dual_add_f32 v0, v239, v194
	v_dual_fmac_f32 v137, 0xbf5db3d7, v5 :: v_dual_add_f32 v2, v195, v207
	v_sub_f32_e32 v3, v194, v206
	s_delay_alu instid0(VALU_DEP_2)
	v_dual_sub_f32 v5, v196, v209 :: v_dual_fmac_f32 v240, -0.5, v2
	v_add_f32_e32 v2, v193, v197
	s_waitcnt vmcnt(0)
	ds_store_2addr_b64 v4, v[138:139], v[204:205] offset1:1
	ds_store_b64 v4, v[136:137] offset:16
	v_add_f32_e32 v138, v0, v206
	v_dual_add_f32 v0, v194, v206 :: v_dual_add_f32 v139, v1, v207
	v_sub_f32_e32 v1, v195, v207
	v_fmamk_f32 v137, v3, 0x3f5db3d7, v240
	v_fmac_f32_e32 v240, 0xbf5db3d7, v3
	s_delay_alu instid0(VALU_DEP_4)
	v_fma_f32 v239, -0.5, v0, v239
	scratch_load_b32 v0, off, off offset:468 ; 4-byte Folded Reload
	v_add_f32_e32 v4, v197, v210
	v_sub_f32_e32 v3, v197, v210
	v_fmamk_f32 v136, v1, 0xbf5db3d7, v239
	v_fmac_f32_e32 v239, 0x3f5db3d7, v1
	v_add_f32_e32 v1, v196, v209
	v_fmac_f32_e32 v193, -0.5, v4
	s_waitcnt vmcnt(0)
	ds_store_2addr_b64 v0, v[138:139], v[136:137] offset1:1
	ds_store_b64 v0, v[239:240] offset:16
	v_add_f32_e32 v0, v192, v196
	v_fma_f32 v192, -0.5, v1, v192
	v_add_f32_e32 v137, v2, v210
	v_fmamk_f32 v139, v5, 0x3f5db3d7, v193
	v_fmac_f32_e32 v193, 0xbf5db3d7, v5
	v_add_f32_e32 v136, v0, v209
	scratch_load_b32 v0, off, off offset:460 ; 4-byte Folded Reload
	v_fmamk_f32 v138, v3, 0xbf5db3d7, v192
	v_fmac_f32_e32 v192, 0x3f5db3d7, v3
	s_waitcnt vmcnt(0)
	ds_store_2addr_b64 v0, v[136:137], v[138:139] offset1:1
	ds_store_b64 v0, v[192:193] offset:16
	s_waitcnt lgkmcnt(0)
	s_barrier
	buffer_gl0_inv
	ds_load_b64 v[136:137], v255 offset:13104
	ds_load_2addr_b64 v[193:196], v242 offset0:112 offset1:175
	s_waitcnt lgkmcnt(1)
	v_mul_f32_e32 v192, v187, v137
	v_mul_f32_e32 v0, v187, v136
	s_waitcnt lgkmcnt(0)
	v_mul_f32_e32 v1, v185, v196
	v_mul_f32_e32 v2, v185, v195
	v_dual_mul_f32 v3, v181, v194 :: v_dual_fmac_f32 v192, v186, v136
	v_fma_f32 v0, v186, v137, -v0
	s_delay_alu instid0(VALU_DEP_4) | instskip(NEXT) | instid1(VALU_DEP_4)
	v_fmac_f32_e32 v1, v184, v195
	v_fma_f32 v2, v184, v196, -v2
	ds_load_2addr_b64 v[184:187], v208 offset0:104 offset1:167
	v_mul_f32_e32 v4, v181, v193
	v_fmac_f32_e32 v3, v180, v193
	s_delay_alu instid0(VALU_DEP_2) | instskip(SKIP_4) | instid1(VALU_DEP_3)
	v_fma_f32 v4, v180, v194, -v4
	s_waitcnt lgkmcnt(0)
	v_mul_f32_e32 v7, v179, v185
	v_mul_f32_e32 v8, v179, v184
	;; [unrolled: 1-line block ×3, first 2 shown]
	v_dual_mul_f32 v6, v183, v186 :: v_dual_fmac_f32 v7, v178, v184
	s_delay_alu instid0(VALU_DEP_3)
	v_fma_f32 v8, v178, v185, -v8
	ds_load_2addr_b64 v[178:181], v203 offset0:114 offset1:177
	v_fmac_f32_e32 v5, v182, v186
	v_fma_f32 v6, v182, v187, -v6
	s_waitcnt lgkmcnt(0)
	v_mul_f32_e32 v9, v177, v181
	v_mul_f32_e32 v10, v177, v180
	;; [unrolled: 1-line block ×3, first 2 shown]
	s_delay_alu instid0(VALU_DEP_3) | instskip(NEXT) | instid1(VALU_DEP_3)
	v_dual_mul_f32 v12, v173, v178 :: v_dual_fmac_f32 v9, v176, v180
	v_fma_f32 v10, v176, v181, -v10
	s_delay_alu instid0(VALU_DEP_3) | instskip(NEXT) | instid1(VALU_DEP_3)
	v_fmac_f32_e32 v11, v172, v178
	v_fma_f32 v12, v172, v179, -v12
	ds_load_2addr_b64 v[176:179], v202 offset0:106 offset1:169
	s_waitcnt lgkmcnt(0)
	v_mul_f32_e32 v13, v175, v179
	v_mul_f32_e32 v14, v175, v178
	;; [unrolled: 1-line block ×3, first 2 shown]
	s_delay_alu instid0(VALU_DEP_3) | instskip(NEXT) | instid1(VALU_DEP_3)
	v_dual_mul_f32 v136, v171, v176 :: v_dual_fmac_f32 v13, v174, v178
	v_fma_f32 v14, v174, v179, -v14
	s_delay_alu instid0(VALU_DEP_3) | instskip(NEXT) | instid1(VALU_DEP_3)
	v_fmac_f32_e32 v15, v170, v176
	v_fma_f32 v174, v170, v177, -v136
	ds_load_2addr_b64 v[170:173], v254 offset0:116 offset1:179
	s_waitcnt lgkmcnt(0)
	v_mul_f32_e32 v175, v169, v173
	v_mul_f32_e32 v136, v169, v172
	s_delay_alu instid0(VALU_DEP_2) | instskip(NEXT) | instid1(VALU_DEP_2)
	v_fmac_f32_e32 v175, v168, v172
	v_fma_f32 v172, v168, v173, -v136
	v_mul_f32_e32 v173, v157, v171
	v_mul_f32_e32 v136, v157, v170
	s_delay_alu instid0(VALU_DEP_2) | instskip(NEXT) | instid1(VALU_DEP_2)
	v_fmac_f32_e32 v173, v156, v170
	v_fma_f32 v176, v156, v171, -v136
	ds_load_2addr_b64 v[168:171], v200 offset0:108 offset1:171
	s_waitcnt lgkmcnt(0)
	v_mul_f32_e32 v136, v159, v170
	v_mul_f32_e32 v179, v155, v169
	;; [unrolled: 1-line block ×3, first 2 shown]
	s_delay_alu instid0(VALU_DEP_3) | instskip(SKIP_1) | instid1(VALU_DEP_4)
	v_fma_f32 v178, v158, v171, -v136
	v_mul_f32_e32 v136, v155, v168
	v_fmac_f32_e32 v179, v154, v168
	s_delay_alu instid0(VALU_DEP_4) | instskip(NEXT) | instid1(VALU_DEP_3)
	v_fmac_f32_e32 v177, v158, v170
	v_fma_f32 v180, v154, v169, -v136
	ds_load_2addr_b64 v[154:157], v201 offset0:118 offset1:181
	s_waitcnt lgkmcnt(0)
	v_mul_f32_e32 v136, v153, v156
	v_mul_f32_e32 v181, v153, v157
	;; [unrolled: 1-line block ×3, first 2 shown]
	s_delay_alu instid0(VALU_DEP_3) | instskip(NEXT) | instid1(VALU_DEP_3)
	v_fma_f32 v182, v152, v157, -v136
	v_dual_mul_f32 v136, v149, v154 :: v_dual_fmac_f32 v181, v152, v156
	s_delay_alu instid0(VALU_DEP_3) | instskip(NEXT) | instid1(VALU_DEP_2)
	v_fmac_f32_e32 v183, v148, v154
	v_fma_f32 v184, v148, v155, -v136
	ds_load_2addr_b64 v[152:155], v199 offset0:110 offset1:173
	s_waitcnt lgkmcnt(0)
	v_mul_f32_e32 v185, v151, v155
	v_mul_f32_e32 v136, v151, v154
	s_delay_alu instid0(VALU_DEP_2) | instskip(NEXT) | instid1(VALU_DEP_2)
	v_fmac_f32_e32 v185, v150, v154
	v_fma_f32 v186, v150, v155, -v136
	v_mul_f32_e32 v154, v147, v153
	v_mul_f32_e32 v136, v147, v152
	s_delay_alu instid0(VALU_DEP_2) | instskip(NEXT) | instid1(VALU_DEP_2)
	v_fmac_f32_e32 v154, v146, v152
	v_fma_f32 v136, v146, v153, -v136
	ds_load_2addr_b64 v[146:149], v241 offset0:120 offset1:183
	s_waitcnt lgkmcnt(0)
	v_mul_f32_e32 v152, v145, v149
	v_mul_f32_e32 v137, v145, v148
	s_delay_alu instid0(VALU_DEP_2) | instskip(NEXT) | instid1(VALU_DEP_2)
	v_fmac_f32_e32 v152, v144, v148
	v_fma_f32 v137, v144, v149, -v137
	ds_load_2addr_b64 v[148:151], v255 offset1:63
	v_add_f32_e32 v139, v137, v136
	v_sub_f32_e32 v187, v137, v136
	s_waitcnt lgkmcnt(0)
	v_add_f32_e32 v138, v149, v137
	s_delay_alu instid0(VALU_DEP_3) | instskip(SKIP_1) | instid1(VALU_DEP_3)
	v_fma_f32 v139, -0.5, v139, v149
	v_sub_f32_e32 v149, v181, v179
	v_add_f32_e32 v137, v138, v136
	v_add_f32_e32 v136, v148, v152
	;; [unrolled: 1-line block ×3, first 2 shown]
	s_delay_alu instid0(VALU_DEP_2) | instskip(NEXT) | instid1(VALU_DEP_2)
	v_add_f32_e32 v136, v136, v154
	v_fma_f32 v138, -0.5, v138, v148
	v_sub_f32_e32 v148, v152, v154
	ds_load_2addr_b64 v[152:155], v255 offset0:126 offset1:189
	ds_load_2addr_b64 v[156:159], v243 offset0:124 offset1:187
	;; [unrolled: 1-line block ×3, first 2 shown]
	s_waitcnt lgkmcnt(0)
	s_barrier
	buffer_gl0_inv
	scratch_load_b32 v16, off, off offset:448 ; 4-byte Folded Reload
	v_fmamk_f32 v144, v187, 0xbf5db3d7, v138
	v_dual_fmamk_f32 v145, v148, 0x3f5db3d7, v139 :: v_dual_fmac_f32 v138, 0x3f5db3d7, v187
	v_fmac_f32_e32 v139, 0xbf5db3d7, v148
	v_sub_f32_e32 v148, v182, v180
	s_waitcnt vmcnt(0)
	ds_store_2addr_b64 v16, v[136:137], v[144:145] offset1:3
	ds_store_b64 v16, v[138:139] offset:48
	scratch_load_b32 v16, off, off offset:456 ; 4-byte Folded Reload
	v_dual_add_f32 v136, v183, v185 :: v_dual_add_f32 v139, v184, v186
	v_add_f32_e32 v138, v150, v183
	v_dual_sub_f32 v144, v184, v186 :: v_dual_sub_f32 v145, v183, v185
	s_delay_alu instid0(VALU_DEP_3) | instskip(NEXT) | instid1(VALU_DEP_4)
	v_fma_f32 v150, -0.5, v136, v150
	v_dual_add_f32 v136, v151, v184 :: v_dual_fmac_f32 v151, -0.5, v139
	s_delay_alu instid0(VALU_DEP_1) | instskip(NEXT) | instid1(VALU_DEP_3)
	v_dual_add_f32 v137, v136, v186 :: v_dual_add_f32 v136, v138, v185
	v_fmamk_f32 v138, v144, 0xbf5db3d7, v150
	s_delay_alu instid0(VALU_DEP_3)
	v_dual_fmamk_f32 v139, v145, 0x3f5db3d7, v151 :: v_dual_fmac_f32 v150, 0x3f5db3d7, v144
	v_fmac_f32_e32 v151, 0xbf5db3d7, v145
	s_waitcnt vmcnt(0)
	ds_store_2addr_b64 v16, v[136:137], v[138:139] offset1:3
	ds_store_b64 v16, v[150:151] offset:48
	scratch_load_b32 v16, off, off offset:452 ; 4-byte Folded Reload
	v_dual_add_f32 v136, v153, v182 :: v_dual_add_f32 v139, v182, v180
	s_delay_alu instid0(VALU_DEP_1) | instskip(SKIP_1) | instid1(VALU_DEP_2)
	v_dual_add_f32 v138, v181, v179 :: v_dual_add_f32 v137, v136, v180
	v_add_f32_e32 v136, v152, v181
	v_fma_f32 v138, -0.5, v138, v152
	s_delay_alu instid0(VALU_DEP_4) | instskip(NEXT) | instid1(VALU_DEP_3)
	v_fma_f32 v139, -0.5, v139, v153
	v_add_f32_e32 v136, v136, v179
	s_delay_alu instid0(VALU_DEP_3) | instskip(NEXT) | instid1(VALU_DEP_3)
	v_fmamk_f32 v144, v148, 0xbf5db3d7, v138
	v_dual_fmamk_f32 v145, v149, 0x3f5db3d7, v139 :: v_dual_fmac_f32 v138, 0x3f5db3d7, v148
	v_dual_fmac_f32 v139, 0xbf5db3d7, v149 :: v_dual_sub_f32 v148, v172, v174
	s_waitcnt vmcnt(0)
	ds_store_2addr_b64 v16, v[136:137], v[144:145] offset1:3
	ds_store_b64 v16, v[138:139] offset:48
	scratch_load_b32 v16, off, off offset:444 ; 4-byte Folded Reload
	v_dual_add_f32 v136, v173, v177 :: v_dual_add_f32 v139, v176, v178
	v_add_f32_e32 v138, v154, v173
	v_dual_sub_f32 v144, v176, v178 :: v_dual_sub_f32 v145, v173, v177
	s_delay_alu instid0(VALU_DEP_3) | instskip(NEXT) | instid1(VALU_DEP_4)
	v_fma_f32 v154, -0.5, v136, v154
	v_dual_add_f32 v136, v155, v176 :: v_dual_fmac_f32 v155, -0.5, v139
	s_delay_alu instid0(VALU_DEP_1) | instskip(NEXT) | instid1(VALU_DEP_3)
	v_dual_add_f32 v137, v136, v178 :: v_dual_add_f32 v136, v138, v177
	v_fmamk_f32 v138, v144, 0xbf5db3d7, v154
	s_delay_alu instid0(VALU_DEP_3)
	v_dual_fmamk_f32 v139, v145, 0x3f5db3d7, v155 :: v_dual_fmac_f32 v154, 0x3f5db3d7, v144
	v_fmac_f32_e32 v155, 0xbf5db3d7, v145
	s_waitcnt vmcnt(0)
	ds_store_2addr_b64 v16, v[136:137], v[138:139] offset1:3
	ds_store_b64 v16, v[154:155] offset:48
	scratch_load_b32 v16, off, off offset:440 ; 4-byte Folded Reload
	v_dual_add_f32 v136, v157, v172 :: v_dual_add_f32 v139, v172, v174
	s_delay_alu instid0(VALU_DEP_1) | instskip(SKIP_1) | instid1(VALU_DEP_2)
	v_dual_add_f32 v138, v175, v15 :: v_dual_add_f32 v137, v136, v174
	v_add_f32_e32 v136, v156, v175
	v_fma_f32 v138, -0.5, v138, v156
	s_delay_alu instid0(VALU_DEP_4) | instskip(NEXT) | instid1(VALU_DEP_3)
	v_fma_f32 v139, -0.5, v139, v157
	v_add_f32_e32 v136, v136, v15
	s_delay_alu instid0(VALU_DEP_3) | instskip(NEXT) | instid1(VALU_DEP_1)
	v_dual_sub_f32 v15, v175, v15 :: v_dual_fmamk_f32 v144, v148, 0xbf5db3d7, v138
	v_dual_fmac_f32 v138, 0x3f5db3d7, v148 :: v_dual_fmamk_f32 v145, v15, 0x3f5db3d7, v139
	v_fmac_f32_e32 v139, 0xbf5db3d7, v15
	v_add_f32_e32 v15, v11, v13
	s_waitcnt vmcnt(0)
	ds_store_2addr_b64 v16, v[136:137], v[144:145] offset1:3
	v_dual_add_f32 v136, v158, v11 :: v_dual_sub_f32 v11, v11, v13
	ds_store_b64 v16, v[138:139] offset:48
	v_add_f32_e32 v138, v12, v14
	v_fma_f32 v158, -0.5, v15, v158
	v_add_f32_e32 v136, v136, v13
	scratch_load_b32 v13, off, off offset:436 ; 4-byte Folded Reload
	v_dual_add_f32 v15, v159, v12 :: v_dual_sub_f32 v12, v12, v14
	v_fmac_f32_e32 v159, -0.5, v138
	s_delay_alu instid0(VALU_DEP_2) | instskip(NEXT) | instid1(VALU_DEP_2)
	v_dual_add_f32 v137, v15, v14 :: v_dual_fmamk_f32 v138, v12, 0xbf5db3d7, v158
	v_fmamk_f32 v139, v11, 0x3f5db3d7, v159
	v_fmac_f32_e32 v159, 0xbf5db3d7, v11
	v_dual_add_f32 v11, v169, v10 :: v_dual_fmac_f32 v158, 0x3f5db3d7, v12
	v_add_f32_e32 v12, v10, v8
	v_sub_f32_e32 v10, v10, v8
	s_waitcnt vmcnt(0)
	ds_store_2addr_b64 v13, v[136:137], v[138:139] offset1:3
	v_dual_add_f32 v137, v11, v8 :: v_dual_add_f32 v8, v168, v9
	v_fma_f32 v139, -0.5, v12, v169
	ds_store_b64 v13, v[158:159] offset:48
	v_add_f32_e32 v136, v8, v7
	v_add_f32_e32 v8, v9, v7
	v_sub_f32_e32 v7, v9, v7
	v_add_f32_e32 v9, v4, v6
	s_delay_alu instid0(VALU_DEP_3)
	v_fma_f32 v138, -0.5, v8, v168
	scratch_load_b32 v8, off, off offset:432 ; 4-byte Folded Reload
	v_fmamk_f32 v145, v7, 0x3f5db3d7, v139
	v_fmac_f32_e32 v139, 0xbf5db3d7, v7
	v_dual_add_f32 v7, v3, v5 :: v_dual_fmamk_f32 v144, v10, 0xbf5db3d7, v138
	v_fmac_f32_e32 v138, 0x3f5db3d7, v10
	s_waitcnt vmcnt(0)
	ds_store_2addr_b64 v8, v[136:137], v[144:145] offset1:3
	ds_store_b64 v8, v[138:139] offset:48
	v_dual_add_f32 v8, v170, v3 :: v_dual_sub_f32 v3, v3, v5
	v_fma_f32 v170, -0.5, v7, v170
	v_dual_add_f32 v7, v171, v4 :: v_dual_sub_f32 v4, v4, v6
	s_delay_alu instid0(VALU_DEP_3) | instskip(SKIP_4) | instid1(VALU_DEP_3)
	v_add_f32_e32 v136, v8, v5
	scratch_load_b32 v5, off, off offset:424 ; 4-byte Folded Reload
	v_fmac_f32_e32 v171, -0.5, v9
	v_dual_add_f32 v137, v7, v6 :: v_dual_fmamk_f32 v138, v4, 0xbf5db3d7, v170
	v_fmac_f32_e32 v170, 0x3f5db3d7, v4
	v_dual_add_f32 v4, v146, v1 :: v_dual_fmamk_f32 v139, v3, 0x3f5db3d7, v171
	v_fmac_f32_e32 v171, 0xbf5db3d7, v3
	v_add_f32_e32 v3, v1, v192
	s_delay_alu instid0(VALU_DEP_1)
	v_fma_f32 v146, -0.5, v3, v146
	v_add_f32_e32 v3, v2, v0
	s_waitcnt vmcnt(0)
	ds_store_2addr_b64 v5, v[136:137], v[138:139] offset1:3
	ds_store_b64 v5, v[170:171] offset:48
	v_dual_add_f32 v5, v147, v2 :: v_dual_sub_f32 v2, v2, v0
	v_dual_fmac_f32 v147, -0.5, v3 :: v_dual_add_f32 v136, v4, v192
	s_delay_alu instid0(VALU_DEP_2)
	v_add_f32_e32 v137, v5, v0
	v_sub_f32_e32 v0, v1, v192
	scratch_load_b32 v1, off, off offset:428 ; 4-byte Folded Reload
	v_fmamk_f32 v138, v2, 0xbf5db3d7, v146
	v_dual_fmac_f32 v146, 0x3f5db3d7, v2 :: v_dual_fmamk_f32 v139, v0, 0x3f5db3d7, v147
	v_fmac_f32_e32 v147, 0xbf5db3d7, v0
	s_waitcnt vmcnt(0)
	ds_store_2addr_b64 v1, v[136:137], v[138:139] offset1:3
	ds_store_b64 v1, v[146:147] offset:48
	s_waitcnt lgkmcnt(0)
	s_barrier
	buffer_gl0_inv
	ds_load_b64 v[136:137], v255 offset:13104
	ds_load_2addr_b64 v[145:148], v242 offset0:112 offset1:175
	s_waitcnt lgkmcnt(1)
	v_mul_f32_e32 v144, v143, v137
	v_mul_f32_e32 v0, v143, v136
	s_waitcnt lgkmcnt(0)
	v_mul_f32_e32 v1, v141, v148
	v_mul_f32_e32 v2, v141, v147
	v_dual_mul_f32 v3, v133, v146 :: v_dual_fmac_f32 v144, v142, v136
	v_fma_f32 v0, v142, v137, -v0
	s_delay_alu instid0(VALU_DEP_4) | instskip(NEXT) | instid1(VALU_DEP_4)
	v_fmac_f32_e32 v1, v140, v147
	v_fma_f32 v2, v140, v148, -v2
	ds_load_2addr_b64 v[140:143], v208 offset0:104 offset1:167
	v_mul_f32_e32 v4, v133, v145
	v_fmac_f32_e32 v3, v132, v145
	s_delay_alu instid0(VALU_DEP_2) | instskip(SKIP_4) | instid1(VALU_DEP_3)
	v_fma_f32 v4, v132, v146, -v4
	s_waitcnt lgkmcnt(0)
	v_mul_f32_e32 v7, v131, v141
	v_mul_f32_e32 v8, v131, v140
	;; [unrolled: 1-line block ×3, first 2 shown]
	v_dual_mul_f32 v6, v135, v142 :: v_dual_fmac_f32 v7, v130, v140
	s_delay_alu instid0(VALU_DEP_3)
	v_fma_f32 v8, v130, v141, -v8
	ds_load_2addr_b64 v[130:133], v203 offset0:114 offset1:177
	v_fmac_f32_e32 v5, v134, v142
	v_fma_f32 v6, v134, v143, -v6
	s_waitcnt lgkmcnt(0)
	v_mul_f32_e32 v9, v129, v133
	v_mul_f32_e32 v10, v129, v132
	;; [unrolled: 1-line block ×3, first 2 shown]
	s_delay_alu instid0(VALU_DEP_3) | instskip(NEXT) | instid1(VALU_DEP_3)
	v_dual_mul_f32 v12, v125, v130 :: v_dual_fmac_f32 v9, v128, v132
	v_fma_f32 v10, v128, v133, -v10
	s_delay_alu instid0(VALU_DEP_3) | instskip(NEXT) | instid1(VALU_DEP_3)
	v_fmac_f32_e32 v11, v124, v130
	v_fma_f32 v12, v124, v131, -v12
	ds_load_2addr_b64 v[128:131], v202 offset0:106 offset1:169
	s_waitcnt lgkmcnt(0)
	v_mul_f32_e32 v13, v127, v131
	v_mul_f32_e32 v14, v127, v130
	;; [unrolled: 1-line block ×4, first 2 shown]
	s_delay_alu instid0(VALU_DEP_4) | instskip(NEXT) | instid1(VALU_DEP_4)
	v_fmac_f32_e32 v13, v126, v130
	v_fma_f32 v14, v126, v131, -v14
	s_delay_alu instid0(VALU_DEP_4) | instskip(NEXT) | instid1(VALU_DEP_4)
	v_fmac_f32_e32 v15, v122, v128
	v_fma_f32 v126, v122, v129, -v123
	ds_load_2addr_b64 v[122:125], v254 offset0:116 offset1:179
	s_waitcnt lgkmcnt(0)
	v_mul_f32_e32 v127, v121, v125
	v_mul_f32_e32 v121, v121, v124
	;; [unrolled: 1-line block ×4, first 2 shown]
	s_delay_alu instid0(VALU_DEP_4) | instskip(NEXT) | instid1(VALU_DEP_4)
	v_fmac_f32_e32 v127, v120, v124
	v_fma_f32 v128, v120, v125, -v121
	s_delay_alu instid0(VALU_DEP_4) | instskip(NEXT) | instid1(VALU_DEP_4)
	v_fmac_f32_e32 v129, v116, v122
	v_fma_f32 v130, v116, v123, -v117
	ds_load_2addr_b64 v[120:123], v200 offset0:108 offset1:171
	s_waitcnt lgkmcnt(0)
	v_mul_f32_e32 v116, v119, v122
	v_mul_f32_e32 v133, v115, v121
	;; [unrolled: 1-line block ×4, first 2 shown]
	s_delay_alu instid0(VALU_DEP_4) | instskip(NEXT) | instid1(VALU_DEP_4)
	v_fma_f32 v132, v118, v123, -v116
	v_fmac_f32_e32 v133, v114, v120
	s_delay_alu instid0(VALU_DEP_4)
	v_fma_f32 v134, v114, v121, -v115
	ds_load_2addr_b64 v[114:117], v201 offset0:118 offset1:181
	v_fmac_f32_e32 v131, v118, v122
	s_waitcnt lgkmcnt(0)
	v_mul_f32_e32 v135, v113, v117
	v_mul_f32_e32 v113, v113, v116
	;; [unrolled: 1-line block ×4, first 2 shown]
	s_delay_alu instid0(VALU_DEP_4) | instskip(NEXT) | instid1(VALU_DEP_4)
	v_fmac_f32_e32 v135, v112, v116
	v_fma_f32 v136, v112, v117, -v113
	s_delay_alu instid0(VALU_DEP_4) | instskip(NEXT) | instid1(VALU_DEP_4)
	v_fmac_f32_e32 v137, v108, v114
	v_fma_f32 v138, v108, v115, -v109
	ds_load_2addr_b64 v[112:115], v199 offset0:110 offset1:173
	s_waitcnt lgkmcnt(0)
	v_mul_f32_e32 v139, v111, v115
	v_mul_f32_e32 v108, v111, v114
	s_delay_alu instid0(VALU_DEP_2) | instskip(SKIP_1) | instid1(VALU_DEP_3)
	v_dual_fmac_f32 v139, v110, v114 :: v_dual_mul_f32 v114, v107, v113
	v_mul_f32_e32 v107, v107, v112
	v_fma_f32 v140, v110, v115, -v108
	s_delay_alu instid0(VALU_DEP_3) | instskip(NEXT) | instid1(VALU_DEP_3)
	v_fmac_f32_e32 v114, v106, v112
	v_fma_f32 v112, v106, v113, -v107
	ds_load_2addr_b64 v[106:109], v241 offset0:120 offset1:183
	s_waitcnt lgkmcnt(0)
	v_mul_f32_e32 v113, v105, v109
	v_mul_f32_e32 v105, v105, v108
	s_delay_alu instid0(VALU_DEP_2) | instskip(NEXT) | instid1(VALU_DEP_2)
	v_fmac_f32_e32 v113, v104, v108
	v_fma_f32 v104, v104, v109, -v105
	ds_load_2addr_b64 v[108:111], v255 offset1:63
	v_dual_sub_f32 v142, v113, v114 :: v_dual_add_f32 v115, v104, v112
	v_sub_f32_e32 v141, v104, v112
	s_waitcnt lgkmcnt(0)
	v_dual_add_f32 v105, v109, v104 :: v_dual_add_f32 v104, v108, v113
	s_delay_alu instid0(VALU_DEP_3) | instskip(NEXT) | instid1(VALU_DEP_2)
	v_fma_f32 v109, -0.5, v115, v109
	v_add_f32_e32 v105, v105, v112
	v_add_f32_e32 v112, v113, v114
	s_delay_alu instid0(VALU_DEP_3) | instskip(SKIP_1) | instid1(VALU_DEP_3)
	v_dual_add_f32 v104, v104, v114 :: v_dual_fmamk_f32 v125, v142, 0x3f5db3d7, v109
	v_fmac_f32_e32 v109, 0xbf5db3d7, v142
	v_fma_f32 v108, -0.5, v112, v108
	ds_load_2addr_b64 v[112:115], v255 offset0:126 offset1:189
	ds_load_2addr_b64 v[116:119], v243 offset0:124 offset1:187
	;; [unrolled: 1-line block ×3, first 2 shown]
	s_waitcnt lgkmcnt(0)
	s_barrier
	buffer_gl0_inv
	scratch_load_b32 v143, off, off offset:396 ; 4-byte Folded Reload
	v_fmamk_f32 v124, v141, 0xbf5db3d7, v108
	v_fmac_f32_e32 v108, 0x3f5db3d7, v141
	s_waitcnt vmcnt(0)
	ds_store_2addr_b64 v143, v[104:105], v[124:125] offset1:9
	ds_store_b64 v143, v[108:109] offset:144
	v_add_f32_e32 v104, v137, v139
	v_dual_add_f32 v108, v110, v137 :: v_dual_sub_f32 v125, v137, v139
	scratch_load_b32 v137, off, off offset:404 ; 4-byte Folded Reload
	v_add_f32_e32 v109, v138, v140
	v_fma_f32 v110, -0.5, v104, v110
	v_add_f32_e32 v104, v111, v138
	s_delay_alu instid0(VALU_DEP_3) | instskip(NEXT) | instid1(VALU_DEP_2)
	v_dual_sub_f32 v124, v138, v140 :: v_dual_fmac_f32 v111, -0.5, v109
	v_add_f32_e32 v105, v104, v140
	v_add_f32_e32 v104, v108, v139
	s_delay_alu instid0(VALU_DEP_3) | instskip(NEXT) | instid1(VALU_DEP_4)
	v_fmamk_f32 v108, v124, 0xbf5db3d7, v110
	v_dual_fmamk_f32 v109, v125, 0x3f5db3d7, v111 :: v_dual_fmac_f32 v110, 0x3f5db3d7, v124
	v_dual_fmac_f32 v111, 0xbf5db3d7, v125 :: v_dual_sub_f32 v124, v136, v134
	s_waitcnt vmcnt(0)
	ds_store_2addr_b64 v137, v[104:105], v[108:109] offset1:9
	v_dual_add_f32 v109, v136, v134 :: v_dual_add_f32 v104, v113, v136
	v_add_f32_e32 v108, v135, v133
	ds_store_b64 v137, v[110:111] offset:144
	v_fma_f32 v109, -0.5, v109, v113
	scratch_load_b32 v113, off, off offset:400 ; 4-byte Folded Reload
	v_add_f32_e32 v105, v104, v134
	v_add_f32_e32 v104, v112, v135
	v_fma_f32 v108, -0.5, v108, v112
	v_sub_f32_e32 v112, v135, v133
	s_delay_alu instid0(VALU_DEP_3) | instskip(NEXT) | instid1(VALU_DEP_3)
	v_add_f32_e32 v104, v104, v133
	v_fmamk_f32 v110, v124, 0xbf5db3d7, v108
	s_delay_alu instid0(VALU_DEP_3)
	v_fmamk_f32 v111, v112, 0x3f5db3d7, v109
	v_fmac_f32_e32 v109, 0xbf5db3d7, v112
	scratch_load_b32 v112, off, off offset:392 ; 4-byte Folded Reload
	v_fmac_f32_e32 v108, 0x3f5db3d7, v124
	s_waitcnt vmcnt(1)
	ds_store_2addr_b64 v113, v[104:105], v[110:111] offset1:9
	ds_store_b64 v113, v[108:109] offset:144
	scratch_load_b32 v113, off, off offset:388 ; 4-byte Folded Reload
	v_dual_add_f32 v104, v129, v131 :: v_dual_add_f32 v109, v130, v132
	v_add_f32_e32 v108, v114, v129
	v_dual_sub_f32 v110, v130, v132 :: v_dual_sub_f32 v111, v129, v131
	s_delay_alu instid0(VALU_DEP_3) | instskip(NEXT) | instid1(VALU_DEP_4)
	v_fma_f32 v114, -0.5, v104, v114
	v_dual_add_f32 v104, v115, v130 :: v_dual_fmac_f32 v115, -0.5, v109
	s_delay_alu instid0(VALU_DEP_1) | instskip(SKIP_1) | instid1(VALU_DEP_4)
	v_add_f32_e32 v105, v104, v132
	v_add_f32_e32 v104, v108, v131
	v_fmamk_f32 v108, v110, 0xbf5db3d7, v114
	s_delay_alu instid0(VALU_DEP_4)
	v_dual_fmamk_f32 v109, v111, 0x3f5db3d7, v115 :: v_dual_fmac_f32 v114, 0x3f5db3d7, v110
	v_fmac_f32_e32 v115, 0xbf5db3d7, v111
	s_waitcnt vmcnt(1)
	ds_store_2addr_b64 v112, v[104:105], v[108:109] offset1:9
	v_dual_add_f32 v104, v117, v128 :: v_dual_add_f32 v109, v128, v126
	v_add_f32_e32 v108, v127, v15
	ds_store_b64 v112, v[114:115] offset:144
	v_sub_f32_e32 v112, v128, v126
	v_add_f32_e32 v105, v104, v126
	v_add_f32_e32 v104, v116, v127
	v_fma_f32 v108, -0.5, v108, v116
	v_fma_f32 v109, -0.5, v109, v117
	s_delay_alu instid0(VALU_DEP_3) | instskip(NEXT) | instid1(VALU_DEP_3)
	v_add_f32_e32 v104, v104, v15
	v_dual_sub_f32 v15, v127, v15 :: v_dual_fmamk_f32 v110, v112, 0xbf5db3d7, v108
	s_delay_alu instid0(VALU_DEP_1)
	v_dual_fmac_f32 v108, 0x3f5db3d7, v112 :: v_dual_fmamk_f32 v111, v15, 0x3f5db3d7, v109
	v_fmac_f32_e32 v109, 0xbf5db3d7, v15
	v_add_f32_e32 v15, v11, v13
	s_waitcnt vmcnt(0)
	ds_store_2addr_b64 v113, v[104:105], v[110:111] offset1:9
	v_dual_add_f32 v104, v118, v11 :: v_dual_sub_f32 v11, v11, v13
	ds_store_b64 v113, v[108:109] offset:144
	v_add_f32_e32 v108, v12, v14
	v_fma_f32 v118, -0.5, v15, v118
	v_add_f32_e32 v104, v104, v13
	scratch_load_b32 v13, off, off offset:384 ; 4-byte Folded Reload
	v_dual_add_f32 v15, v119, v12 :: v_dual_sub_f32 v12, v12, v14
	v_fmac_f32_e32 v119, -0.5, v108
	s_delay_alu instid0(VALU_DEP_2) | instskip(NEXT) | instid1(VALU_DEP_2)
	v_dual_add_f32 v105, v15, v14 :: v_dual_fmamk_f32 v108, v12, 0xbf5db3d7, v118
	v_fmamk_f32 v109, v11, 0x3f5db3d7, v119
	v_fmac_f32_e32 v119, 0xbf5db3d7, v11
	v_dual_add_f32 v11, v121, v10 :: v_dual_fmac_f32 v118, 0x3f5db3d7, v12
	v_add_f32_e32 v12, v10, v8
	v_sub_f32_e32 v10, v10, v8
	s_waitcnt vmcnt(0)
	ds_store_2addr_b64 v13, v[104:105], v[108:109] offset1:9
	v_dual_add_f32 v105, v11, v8 :: v_dual_add_f32 v8, v120, v9
	v_fma_f32 v109, -0.5, v12, v121
	ds_store_b64 v13, v[118:119] offset:144
	v_add_f32_e32 v104, v8, v7
	v_add_f32_e32 v8, v9, v7
	v_sub_f32_e32 v7, v9, v7
	v_add_f32_e32 v9, v4, v6
	s_delay_alu instid0(VALU_DEP_3)
	v_fma_f32 v108, -0.5, v8, v120
	scratch_load_b32 v8, off, off offset:380 ; 4-byte Folded Reload
	v_fmamk_f32 v111, v7, 0x3f5db3d7, v109
	v_fmac_f32_e32 v109, 0xbf5db3d7, v7
	v_dual_add_f32 v7, v3, v5 :: v_dual_fmamk_f32 v110, v10, 0xbf5db3d7, v108
	v_fmac_f32_e32 v108, 0x3f5db3d7, v10
	s_waitcnt vmcnt(0)
	ds_store_2addr_b64 v8, v[104:105], v[110:111] offset1:9
	ds_store_b64 v8, v[108:109] offset:144
	v_dual_add_f32 v8, v122, v3 :: v_dual_sub_f32 v3, v3, v5
	v_fma_f32 v122, -0.5, v7, v122
	v_dual_add_f32 v7, v123, v4 :: v_dual_sub_f32 v4, v4, v6
	s_delay_alu instid0(VALU_DEP_3) | instskip(SKIP_4) | instid1(VALU_DEP_3)
	v_add_f32_e32 v104, v8, v5
	scratch_load_b32 v5, off, off offset:372 ; 4-byte Folded Reload
	v_fmac_f32_e32 v123, -0.5, v9
	v_dual_add_f32 v105, v7, v6 :: v_dual_fmamk_f32 v108, v4, 0xbf5db3d7, v122
	v_fmac_f32_e32 v122, 0x3f5db3d7, v4
	v_dual_add_f32 v4, v106, v1 :: v_dual_fmamk_f32 v109, v3, 0x3f5db3d7, v123
	v_fmac_f32_e32 v123, 0xbf5db3d7, v3
	v_add_f32_e32 v3, v1, v144
	s_delay_alu instid0(VALU_DEP_1)
	v_fma_f32 v106, -0.5, v3, v106
	v_add_f32_e32 v3, v2, v0
	s_waitcnt vmcnt(0)
	ds_store_2addr_b64 v5, v[104:105], v[108:109] offset1:9
	ds_store_b64 v5, v[122:123] offset:144
	v_dual_add_f32 v5, v107, v2 :: v_dual_sub_f32 v2, v2, v0
	v_dual_fmac_f32 v107, -0.5, v3 :: v_dual_add_f32 v104, v4, v144
	s_delay_alu instid0(VALU_DEP_2)
	v_add_f32_e32 v105, v5, v0
	v_sub_f32_e32 v0, v1, v144
	scratch_load_b32 v1, off, off offset:376 ; 4-byte Folded Reload
	v_fmamk_f32 v108, v2, 0xbf5db3d7, v106
	v_dual_fmac_f32 v106, 0x3f5db3d7, v2 :: v_dual_fmamk_f32 v109, v0, 0x3f5db3d7, v107
	v_fmac_f32_e32 v107, 0xbf5db3d7, v0
	s_waitcnt vmcnt(0)
	ds_store_2addr_b64 v1, v[104:105], v[108:109] offset1:9
	ds_store_b64 v1, v[106:107] offset:144
	s_waitcnt lgkmcnt(0)
	s_barrier
	buffer_gl0_inv
	ds_load_b64 v[105:106], v255 offset:13104
	s_waitcnt lgkmcnt(0)
	v_mul_f32_e32 v104, v103, v106
	v_mul_f32_e32 v0, v103, v105
	s_delay_alu instid0(VALU_DEP_2) | instskip(NEXT) | instid1(VALU_DEP_2)
	v_fmac_f32_e32 v104, v102, v105
	v_fma_f32 v0, v102, v106, -v0
	ds_load_2addr_b64 v[105:108], v242 offset0:112 offset1:175
	s_waitcnt lgkmcnt(0)
	v_mul_f32_e32 v1, v101, v108
	v_mul_f32_e32 v2, v101, v107
	;; [unrolled: 1-line block ×3, first 2 shown]
	s_delay_alu instid0(VALU_DEP_3) | instskip(NEXT) | instid1(VALU_DEP_3)
	v_dual_mul_f32 v4, v97, v105 :: v_dual_fmac_f32 v1, v100, v107
	v_fma_f32 v2, v100, v108, -v2
	ds_load_2addr_b64 v[100:103], v208 offset0:104 offset1:167
	v_fmac_f32_e32 v3, v96, v105
	v_fma_f32 v4, v96, v106, -v4
	s_waitcnt lgkmcnt(0)
	v_mul_f32_e32 v7, v95, v101
	v_mul_f32_e32 v8, v95, v100
	;; [unrolled: 1-line block ×3, first 2 shown]
	s_delay_alu instid0(VALU_DEP_3) | instskip(NEXT) | instid1(VALU_DEP_3)
	v_fmac_f32_e32 v7, v94, v100
	v_fma_f32 v8, v94, v101, -v8
	ds_load_2addr_b64 v[94:97], v203 offset0:114 offset1:177
	v_fmac_f32_e32 v5, v98, v102
	s_waitcnt lgkmcnt(0)
	v_mul_f32_e32 v9, v93, v97
	v_mul_f32_e32 v10, v93, v96
	;; [unrolled: 1-line block ×3, first 2 shown]
	s_delay_alu instid0(VALU_DEP_3) | instskip(NEXT) | instid1(VALU_DEP_3)
	v_dual_mul_f32 v12, v65, v94 :: v_dual_fmac_f32 v9, v92, v96
	v_fma_f32 v10, v92, v97, -v10
	s_delay_alu instid0(VALU_DEP_3) | instskip(NEXT) | instid1(VALU_DEP_3)
	v_fmac_f32_e32 v11, v64, v94
	v_fma_f32 v12, v64, v95, -v12
	ds_load_2addr_b64 v[92:95], v202 offset0:106 offset1:169
	s_waitcnt lgkmcnt(0)
	v_mul_f32_e32 v13, v67, v95
	v_mul_f32_e32 v14, v67, v94
	v_mul_f32_e32 v15, v59, v93
	v_mul_f32_e32 v59, v59, v92
	s_delay_alu instid0(VALU_DEP_4) | instskip(NEXT) | instid1(VALU_DEP_4)
	v_fmac_f32_e32 v13, v66, v94
	v_fma_f32 v14, v66, v95, -v14
	ds_load_2addr_b64 v[64:67], v254 offset0:116 offset1:179
	v_fmac_f32_e32 v15, v58, v92
	v_fma_f32 v92, v58, v93, -v59
	s_waitcnt lgkmcnt(0)
	v_dual_mul_f32 v6, v99, v102 :: v_dual_mul_f32 v93, v57, v67
	v_mul_f32_e32 v57, v57, v66
	s_delay_alu instid0(VALU_DEP_2) | instskip(NEXT) | instid1(VALU_DEP_2)
	v_fmac_f32_e32 v93, v56, v66
	v_fma_f32 v66, v56, v67, -v57
	v_mul_f32_e32 v67, v37, v65
	ds_load_2addr_b64 v[56:59], v200 offset0:108 offset1:171
	v_mul_f32_e32 v37, v37, v64
	v_fma_f32 v6, v98, v103, -v6
	v_fmac_f32_e32 v67, v36, v64
	s_delay_alu instid0(VALU_DEP_3)
	v_fma_f32 v94, v36, v65, -v37
	s_waitcnt lgkmcnt(0)
	v_mul_f32_e32 v36, v39, v58
	v_mul_f32_e32 v97, v35, v57
	;; [unrolled: 1-line block ×4, first 2 shown]
	s_delay_alu instid0(VALU_DEP_4) | instskip(NEXT) | instid1(VALU_DEP_4)
	v_fma_f32 v96, v38, v59, -v36
	v_fmac_f32_e32 v97, v34, v56
	s_delay_alu instid0(VALU_DEP_4)
	v_fma_f32 v98, v34, v57, -v35
	ds_load_2addr_b64 v[34:37], v201 offset0:118 offset1:181
	v_fmac_f32_e32 v95, v38, v58
	s_waitcnt lgkmcnt(0)
	v_mul_f32_e32 v99, v33, v37
	v_mul_f32_e32 v33, v33, v36
	v_mul_f32_e32 v101, v29, v35
	v_mul_f32_e32 v29, v29, v34
	s_delay_alu instid0(VALU_DEP_4) | instskip(NEXT) | instid1(VALU_DEP_4)
	v_fmac_f32_e32 v99, v32, v36
	v_fma_f32 v100, v32, v37, -v33
	s_delay_alu instid0(VALU_DEP_4) | instskip(NEXT) | instid1(VALU_DEP_4)
	v_fmac_f32_e32 v101, v28, v34
	v_fma_f32 v102, v28, v35, -v29
	ds_load_2addr_b64 v[32:35], v199 offset0:110 offset1:173
	s_waitcnt lgkmcnt(0)
	v_mul_f32_e32 v103, v31, v35
	v_mul_f32_e32 v28, v31, v34
	s_delay_alu instid0(VALU_DEP_2) | instskip(NEXT) | instid1(VALU_DEP_2)
	v_fmac_f32_e32 v103, v30, v34
	v_fma_f32 v105, v30, v35, -v28
	ds_load_2addr_b64 v[28:31], v241 offset0:120 offset1:183
	v_mul_f32_e32 v34, v23, v33
	v_mul_f32_e32 v23, v23, v32
	s_delay_alu instid0(VALU_DEP_2) | instskip(NEXT) | instid1(VALU_DEP_2)
	v_fmac_f32_e32 v34, v22, v32
	v_fma_f32 v32, v22, v33, -v23
	s_waitcnt lgkmcnt(0)
	v_mul_f32_e32 v33, v21, v31
	v_mul_f32_e32 v21, v21, v30
	s_delay_alu instid0(VALU_DEP_2) | instskip(NEXT) | instid1(VALU_DEP_2)
	v_fmac_f32_e32 v33, v20, v30
	v_fma_f32 v30, v20, v31, -v21
	ds_load_2addr_b64 v[20:23], v255 offset1:63
	v_sub_f32_e32 v107, v33, v34
	v_add_f32_e32 v35, v30, v32
	s_waitcnt lgkmcnt(0)
	v_dual_sub_f32 v106, v30, v32 :: v_dual_add_f32 v31, v21, v30
	v_add_f32_e32 v30, v20, v33
	s_delay_alu instid0(VALU_DEP_3) | instskip(NEXT) | instid1(VALU_DEP_2)
	v_fma_f32 v21, -0.5, v35, v21
	v_dual_add_f32 v39, v31, v32 :: v_dual_add_f32 v38, v30, v34
	s_delay_alu instid0(VALU_DEP_2) | instskip(NEXT) | instid1(VALU_DEP_1)
	v_dual_add_f32 v30, v33, v34 :: v_dual_fmamk_f32 v65, v107, 0x3f5db3d7, v21
	v_fma_f32 v20, -0.5, v30, v20
	ds_load_2addr_b64 v[30:33], v255 offset0:126 offset1:189
	ds_load_2addr_b64 v[34:37], v243 offset0:124 offset1:187
	;; [unrolled: 1-line block ×3, first 2 shown]
	s_waitcnt lgkmcnt(0)
	s_barrier
	buffer_gl0_inv
	scratch_load_b32 v108, off, off offset:348 ; 4-byte Folded Reload
	v_fmamk_f32 v64, v106, 0xbf5db3d7, v20
	v_fmac_f32_e32 v20, 0x3f5db3d7, v106
	v_fmac_f32_e32 v21, 0xbf5db3d7, v107
	s_waitcnt vmcnt(0)
	ds_store_b64 v108, v[20:21] offset:432
	v_add_f32_e32 v20, v101, v103
	ds_store_2addr_b64 v108, v[38:39], v[64:65] offset1:27
	v_add_f32_e32 v38, v22, v101
	v_sub_f32_e32 v64, v102, v105
	v_add_f32_e32 v39, v102, v105
	v_fma_f32 v22, -0.5, v20, v22
	s_delay_alu instid0(VALU_DEP_2) | instskip(NEXT) | instid1(VALU_DEP_1)
	v_dual_add_f32 v20, v23, v102 :: v_dual_fmac_f32 v23, -0.5, v39
	v_dual_add_f32 v21, v20, v105 :: v_dual_add_f32 v20, v38, v103
	s_delay_alu instid0(VALU_DEP_3)
	v_dual_fmamk_f32 v38, v64, 0xbf5db3d7, v22 :: v_dual_sub_f32 v65, v101, v103
	scratch_load_b32 v101, off, off offset:356 ; 4-byte Folded Reload
	v_fmac_f32_e32 v22, 0x3f5db3d7, v64
	scratch_load_b32 v64, off, off offset:352 ; 4-byte Folded Reload
	v_fmamk_f32 v39, v65, 0x3f5db3d7, v23
	s_waitcnt vmcnt(1)
	ds_store_2addr_b64 v101, v[20:21], v[38:39] offset1:27
	v_add_f32_e32 v20, v31, v100
	v_dual_sub_f32 v38, v100, v98 :: v_dual_sub_f32 v39, v99, v97
	s_delay_alu instid0(VALU_DEP_2) | instskip(NEXT) | instid1(VALU_DEP_1)
	v_dual_add_f32 v21, v20, v98 :: v_dual_add_f32 v20, v30, v99
	v_add_f32_e32 v20, v20, v97
	v_fmac_f32_e32 v23, 0xbf5db3d7, v65
	ds_store_b64 v101, v[22:23] offset:432
	v_dual_add_f32 v22, v99, v97 :: v_dual_add_f32 v23, v100, v98
	s_delay_alu instid0(VALU_DEP_1) | instskip(NEXT) | instid1(VALU_DEP_2)
	v_fma_f32 v22, -0.5, v22, v30
	v_fma_f32 v23, -0.5, v23, v31
	s_delay_alu instid0(VALU_DEP_2)
	v_fmamk_f32 v30, v38, 0xbf5db3d7, v22
	v_fmac_f32_e32 v22, 0x3f5db3d7, v38
	scratch_load_b32 v38, off, off offset:344 ; 4-byte Folded Reload
	v_fmamk_f32 v31, v39, 0x3f5db3d7, v23
	s_waitcnt vmcnt(1)
	ds_store_2addr_b64 v64, v[20:21], v[30:31] offset1:27
	v_add_f32_e32 v20, v67, v95
	v_dual_sub_f32 v30, v94, v96 :: v_dual_fmac_f32 v23, 0xbf5db3d7, v39
	v_sub_f32_e32 v31, v67, v95
	ds_store_b64 v64, v[22:23] offset:432
	v_add_f32_e32 v22, v32, v67
	v_fma_f32 v32, -0.5, v20, v32
	v_dual_add_f32 v20, v33, v94 :: v_dual_add_f32 v23, v94, v96
	s_delay_alu instid0(VALU_DEP_1) | instskip(NEXT) | instid1(VALU_DEP_3)
	v_dual_add_f32 v21, v20, v96 :: v_dual_add_f32 v20, v22, v95
	v_fmamk_f32 v22, v30, 0xbf5db3d7, v32
	s_delay_alu instid0(VALU_DEP_3) | instskip(NEXT) | instid1(VALU_DEP_1)
	v_dual_fmac_f32 v32, 0x3f5db3d7, v30 :: v_dual_fmac_f32 v33, -0.5, v23
	v_fmamk_f32 v23, v31, 0x3f5db3d7, v33
	s_waitcnt vmcnt(0)
	ds_store_2addr_b64 v38, v[20:21], v[22:23] offset1:27
	v_dual_add_f32 v20, v35, v66 :: v_dual_add_f32 v23, v66, v92
	s_delay_alu instid0(VALU_DEP_1) | instskip(SKIP_1) | instid1(VALU_DEP_2)
	v_dual_add_f32 v22, v93, v15 :: v_dual_add_f32 v21, v20, v92
	v_add_f32_e32 v20, v34, v93
	v_fma_f32 v22, -0.5, v22, v34
	v_fmac_f32_e32 v33, 0xbf5db3d7, v31
	v_fma_f32 v23, -0.5, v23, v35
	s_delay_alu instid0(VALU_DEP_4) | instskip(SKIP_3) | instid1(VALU_DEP_1)
	v_add_f32_e32 v20, v20, v15
	ds_store_b64 v38, v[32:33] offset:432
	scratch_load_b32 v33, off, off offset:340 ; 4-byte Folded Reload
	v_dual_sub_f32 v32, v66, v92 :: v_dual_sub_f32 v15, v93, v15
	v_fmamk_f32 v30, v32, 0xbf5db3d7, v22
	s_delay_alu instid0(VALU_DEP_2)
	v_dual_fmac_f32 v22, 0x3f5db3d7, v32 :: v_dual_fmamk_f32 v31, v15, 0x3f5db3d7, v23
	v_fmac_f32_e32 v23, 0xbf5db3d7, v15
	v_add_f32_e32 v15, v11, v13
	s_waitcnt vmcnt(0)
	ds_store_2addr_b64 v33, v[20:21], v[30:31] offset1:27
	v_add_f32_e32 v20, v36, v11
	v_fma_f32 v36, -0.5, v15, v36
	v_add_f32_e32 v15, v37, v12
	v_sub_f32_e32 v11, v11, v13
	ds_store_b64 v33, v[22:23] offset:432
	v_add_f32_e32 v20, v20, v13
	scratch_load_b32 v13, off, off offset:332 ; 4-byte Folded Reload
	v_add_f32_e32 v22, v12, v14
	v_sub_f32_e32 v12, v12, v14
	v_add_f32_e32 v21, v15, v14
	s_delay_alu instid0(VALU_DEP_2) | instskip(SKIP_1) | instid1(VALU_DEP_2)
	v_dual_fmac_f32 v37, -0.5, v22 :: v_dual_fmamk_f32 v22, v12, 0xbf5db3d7, v36
	v_fmac_f32_e32 v36, 0x3f5db3d7, v12
	v_dual_add_f32 v12, v10, v8 :: v_dual_fmamk_f32 v23, v11, 0x3f5db3d7, v37
	v_fmac_f32_e32 v37, 0xbf5db3d7, v11
	v_dual_add_f32 v11, v57, v10 :: v_dual_sub_f32 v10, v10, v8
	s_waitcnt vmcnt(0)
	ds_store_2addr_b64 v13, v[20:21], v[22:23] offset1:27
	v_dual_add_f32 v21, v11, v8 :: v_dual_add_f32 v8, v56, v9
	v_fma_f32 v23, -0.5, v12, v57
	ds_store_b64 v13, v[36:37] offset:432
	v_add_f32_e32 v20, v8, v7
	v_add_f32_e32 v8, v9, v7
	s_delay_alu instid0(VALU_DEP_1) | instskip(SKIP_2) | instid1(VALU_DEP_1)
	v_fma_f32 v22, -0.5, v8, v56
	scratch_load_b32 v8, off, off offset:328 ; 4-byte Folded Reload
	v_dual_sub_f32 v7, v9, v7 :: v_dual_fmamk_f32 v30, v10, 0xbf5db3d7, v22
	v_dual_fmac_f32 v22, 0x3f5db3d7, v10 :: v_dual_fmamk_f32 v31, v7, 0x3f5db3d7, v23
	v_fmac_f32_e32 v23, 0xbf5db3d7, v7
	v_add_f32_e32 v7, v3, v5
	s_waitcnt vmcnt(0)
	ds_store_2addr_b64 v8, v[20:21], v[30:31] offset1:27
	ds_store_b64 v8, v[22:23] offset:432
	v_add_f32_e32 v8, v58, v3
	v_fma_f32 v58, -0.5, v7, v58
	v_add_f32_e32 v7, v59, v4
	v_add_f32_e32 v9, v4, v6
	v_sub_f32_e32 v4, v4, v6
	s_delay_alu instid0(VALU_DEP_3) | instskip(NEXT) | instid1(VALU_DEP_2)
	v_dual_add_f32 v20, v8, v5 :: v_dual_add_f32 v21, v7, v6
	v_fmamk_f32 v22, v4, 0xbf5db3d7, v58
	v_fmac_f32_e32 v58, 0x3f5db3d7, v4
	v_add_f32_e32 v4, v28, v1
	v_sub_f32_e32 v3, v3, v5
	scratch_load_b32 v5, off, off offset:320 ; 4-byte Folded Reload
	v_fmac_f32_e32 v59, -0.5, v9
	s_delay_alu instid0(VALU_DEP_1)
	v_fmamk_f32 v23, v3, 0x3f5db3d7, v59
	s_waitcnt vmcnt(0)
	ds_store_2addr_b64 v5, v[20:21], v[22:23] offset1:27
	v_dual_add_f32 v20, v4, v104 :: v_dual_fmac_f32 v59, 0xbf5db3d7, v3
	v_add_f32_e32 v3, v1, v104
	ds_store_b64 v5, v[58:59] offset:432
	v_add_f32_e32 v5, v29, v2
	v_fma_f32 v28, -0.5, v3, v28
	v_add_f32_e32 v3, v2, v0
	v_sub_f32_e32 v2, v2, v0
	s_delay_alu instid0(VALU_DEP_4) | instskip(SKIP_3) | instid1(VALU_DEP_1)
	v_add_f32_e32 v21, v5, v0
	v_sub_f32_e32 v0, v1, v104
	scratch_load_b32 v1, off, off offset:324 ; 4-byte Folded Reload
	v_dual_fmac_f32 v29, -0.5, v3 :: v_dual_fmamk_f32 v22, v2, 0xbf5db3d7, v28
	v_dual_fmac_f32 v28, 0x3f5db3d7, v2 :: v_dual_fmamk_f32 v23, v0, 0x3f5db3d7, v29
	v_fmac_f32_e32 v29, 0xbf5db3d7, v0
	s_waitcnt vmcnt(0)
	ds_store_2addr_b64 v1, v[20:21], v[22:23] offset1:27
	ds_store_b64 v1, v[28:29] offset:432
	s_waitcnt lgkmcnt(0)
	s_barrier
	buffer_gl0_inv
	scratch_load_b128 v[1:4], off, off offset:408 ; 16-byte Folded Reload
	ds_load_b64 v[21:22], v255 offset:13104
	ds_load_2addr_b64 v[28:31], v242 offset0:112 offset1:175
	ds_load_2addr_b64 v[16:19], v200 offset0:108 offset1:171
	;; [unrolled: 1-line block ×3, first 2 shown]
	s_waitcnt lgkmcnt(2)
	v_dual_mul_f32 v0, v51, v21 :: v_dual_mul_f32 v33, v49, v31
	v_dual_mul_f32 v35, v45, v29 :: v_dual_mul_f32 v20, v51, v22
	s_delay_alu instid0(VALU_DEP_2) | instskip(SKIP_1) | instid1(VALU_DEP_4)
	v_fma_f32 v32, v50, v22, -v0
	v_mul_f32_e32 v0, v49, v30
	v_fmac_f32_e32 v33, v48, v30
	s_delay_alu instid0(VALU_DEP_4) | instskip(NEXT) | instid1(VALU_DEP_3)
	v_dual_fmac_f32 v35, v44, v28 :: v_dual_fmac_f32 v20, v50, v21
	v_fma_f32 v34, v48, v31, -v0
	v_mul_f32_e32 v0, v45, v28
	s_delay_alu instid0(VALU_DEP_1)
	v_fma_f32 v36, v44, v29, -v0
	ds_load_2addr_b64 v[28:31], v208 offset0:104 offset1:167
	s_waitcnt lgkmcnt(0)
	v_mul_f32_e32 v0, v47, v30
	v_mul_f32_e32 v37, v47, v31
	;; [unrolled: 1-line block ×3, first 2 shown]
	s_delay_alu instid0(VALU_DEP_3) | instskip(NEXT) | instid1(VALU_DEP_3)
	v_fma_f32 v38, v46, v31, -v0
	v_dual_mul_f32 v0, v43, v28 :: v_dual_fmac_f32 v37, v46, v30
	s_delay_alu instid0(VALU_DEP_3) | instskip(NEXT) | instid1(VALU_DEP_2)
	v_fmac_f32_e32 v39, v42, v28
	v_fma_f32 v42, v42, v29, -v0
	ds_load_2addr_b64 v[28:31], v203 offset0:114 offset1:177
	s_waitcnt lgkmcnt(0)
	v_mul_f32_e32 v43, v41, v31
	v_mul_f32_e32 v0, v41, v30
	s_delay_alu instid0(VALU_DEP_2) | instskip(NEXT) | instid1(VALU_DEP_2)
	v_fmac_f32_e32 v43, v40, v30
	v_fma_f32 v30, v40, v31, -v0
	v_mul_f32_e32 v31, v25, v29
	v_mul_f32_e32 v0, v25, v28
	s_delay_alu instid0(VALU_DEP_2) | instskip(NEXT) | instid1(VALU_DEP_2)
	v_fmac_f32_e32 v31, v24, v28
	v_fma_f32 v25, v24, v29, -v0
	ds_load_2addr_b64 v[21:24], v202 offset0:106 offset1:169
	s_waitcnt lgkmcnt(0)
	v_mul_f32_e32 v28, v27, v24
	v_mul_f32_e32 v0, v27, v23
	s_delay_alu instid0(VALU_DEP_2) | instskip(NEXT) | instid1(VALU_DEP_2)
	v_fmac_f32_e32 v28, v26, v23
	v_fma_f32 v26, v26, v24, -v0
	s_waitcnt vmcnt(0)
	v_mul_f32_e32 v27, v4, v22
	v_mul_f32_e32 v0, v4, v21
	s_delay_alu instid0(VALU_DEP_2) | instskip(NEXT) | instid1(VALU_DEP_2)
	v_fmac_f32_e32 v27, v3, v21
	v_fma_f32 v29, v3, v22, -v0
	ds_load_2addr_b64 v[21:24], v254 offset0:116 offset1:179
	s_waitcnt lgkmcnt(0)
	v_mul_f32_e32 v40, v2, v24
	v_mul_f32_e32 v0, v2, v23
	s_delay_alu instid0(VALU_DEP_2) | instskip(NEXT) | instid1(VALU_DEP_2)
	v_fmac_f32_e32 v40, v1, v23
	v_fma_f32 v23, v1, v24, -v0
	scratch_load_b128 v[1:4], off, off offset:288 ; 16-byte Folded Reload
	s_waitcnt vmcnt(0)
	v_mul_f32_e32 v44, v4, v19
	v_mul_f32_e32 v0, v2, v21
	;; [unrolled: 1-line block ×3, first 2 shown]
	s_delay_alu instid0(VALU_DEP_3) | instskip(NEXT) | instid1(VALU_DEP_3)
	v_fmac_f32_e32 v44, v3, v18
	v_fma_f32 v41, v1, v22, -v0
	v_mul_f32_e32 v0, v4, v18
	s_delay_alu instid0(VALU_DEP_4) | instskip(NEXT) | instid1(VALU_DEP_2)
	v_fmac_f32_e32 v24, v1, v21
	v_fma_f32 v45, v3, v19, -v0
	scratch_load_b128 v[1:4], off, off offset:272 ; 16-byte Folded Reload
	s_waitcnt vmcnt(0)
	v_mul_f32_e32 v0, v4, v16
	v_mul_f32_e32 v46, v4, v17
	;; [unrolled: 1-line block ×3, first 2 shown]
	s_delay_alu instid0(VALU_DEP_3) | instskip(SKIP_1) | instid1(VALU_DEP_4)
	v_fma_f32 v47, v3, v17, -v0
	v_mul_f32_e32 v0, v2, v12
	v_fmac_f32_e32 v46, v3, v16
	s_delay_alu instid0(VALU_DEP_4) | instskip(NEXT) | instid1(VALU_DEP_3)
	v_fmac_f32_e32 v48, v1, v12
	v_fma_f32 v49, v1, v13, -v0
	s_clause 0x1
	scratch_load_b128 v[1:4], off, off offset:256
	scratch_load_b128 v[12:15], off, off offset:240
	s_waitcnt vmcnt(1)
	v_mul_f32_e32 v50, v2, v11
	v_mul_f32_e32 v0, v2, v10
	s_delay_alu instid0(VALU_DEP_2) | instskip(NEXT) | instid1(VALU_DEP_2)
	v_fmac_f32_e32 v50, v1, v10
	v_fma_f32 v51, v1, v11, -v0
	ds_load_2addr_b64 v[8:11], v199 offset0:110 offset1:173
	s_waitcnt lgkmcnt(0)
	v_mul_f32_e32 v56, v4, v11
	v_mul_f32_e32 v0, v4, v10
	s_delay_alu instid0(VALU_DEP_2) | instskip(NEXT) | instid1(VALU_DEP_2)
	v_fmac_f32_e32 v56, v3, v10
	v_fma_f32 v57, v3, v11, -v0
	ds_load_2addr_b64 v[2:5], v241 offset0:120 offset1:183
	s_waitcnt vmcnt(0)
	v_mul_f32_e32 v10, v15, v9
	v_mul_f32_e32 v0, v15, v8
	s_delay_alu instid0(VALU_DEP_2) | instskip(NEXT) | instid1(VALU_DEP_2)
	v_fmac_f32_e32 v10, v14, v8
	v_fma_f32 v0, v14, v9, -v0
	ds_load_2addr_b64 v[6:9], v255 offset1:63
	s_waitcnt lgkmcnt(1)
	v_mul_f32_e32 v1, v13, v4
	v_mul_f32_e32 v11, v13, v5
	s_delay_alu instid0(VALU_DEP_2) | instskip(SKIP_1) | instid1(VALU_DEP_1)
	v_fma_f32 v1, v12, v5, -v1
	s_waitcnt lgkmcnt(0)
	v_dual_fmac_f32 v11, v12, v4 :: v_dual_add_f32 v4, v7, v1
	v_add_f32_e32 v5, v1, v0
	s_delay_alu instid0(VALU_DEP_2) | instskip(NEXT) | instid1(VALU_DEP_3)
	v_dual_sub_f32 v58, v1, v0 :: v_dual_sub_f32 v59, v11, v10
	v_dual_add_f32 v1, v4, v0 :: v_dual_add_f32 v4, v11, v10
	v_add_f32_e32 v0, v6, v11
	s_delay_alu instid0(VALU_DEP_4) | instskip(NEXT) | instid1(VALU_DEP_3)
	v_fma_f32 v19, -0.5, v5, v7
	v_fma_f32 v18, -0.5, v4, v6
	s_delay_alu instid0(VALU_DEP_3) | instskip(NEXT) | instid1(VALU_DEP_3)
	v_add_f32_e32 v0, v0, v10
	v_fmamk_f32 v22, v59, 0x3f5db3d7, v19
	ds_load_2addr_b64 v[10:13], v243 offset0:124 offset1:187
	ds_load_2addr_b64 v[14:17], v255 offset0:126 offset1:189
	ds_load_2addr_b64 v[4:7], v198 offset0:122 offset1:185
	s_waitcnt lgkmcnt(0)
	v_fmamk_f32 v21, v58, 0xbf5db3d7, v18
	s_barrier
	buffer_gl0_inv
	v_fmac_f32_e32 v18, 0x3f5db3d7, v58
	v_fmac_f32_e32 v19, 0xbf5db3d7, v59
	ds_store_2addr_b64 v255, v[0:1], v[21:22] offset1:81
	v_dual_add_f32 v0, v50, v56 :: v_dual_sub_f32 v21, v51, v57
	ds_store_b64 v255, v[18:19] offset:1296
	v_add_f32_e32 v18, v8, v50
	v_fma_f32 v8, -0.5, v0, v8
	v_dual_add_f32 v0, v9, v51 :: v_dual_add_f32 v19, v51, v57
	s_delay_alu instid0(VALU_DEP_1) | instskip(SKIP_2) | instid1(VALU_DEP_1)
	v_dual_add_f32 v1, v0, v57 :: v_dual_sub_f32 v22, v50, v56
	scratch_load_b32 v50, off, off offset:308 ; 4-byte Folded Reload
	v_fmac_f32_e32 v9, -0.5, v19
	v_fmamk_f32 v19, v22, 0x3f5db3d7, v9
	v_add_f32_e32 v0, v18, v56
	v_fmamk_f32 v18, v21, 0xbf5db3d7, v8
	v_fmac_f32_e32 v8, 0x3f5db3d7, v21
	v_fmac_f32_e32 v9, 0xbf5db3d7, v22
	scratch_load_b32 v21, off, off offset:312 ; 4-byte Folded Reload
	s_waitcnt vmcnt(1)
	ds_store_b64 v50, v[8:9] offset:1296
	v_add_f32_e32 v8, v48, v46
	ds_store_2addr_b64 v50, v[0:1], v[18:19] offset1:81
	v_add_f32_e32 v0, v15, v49
	v_sub_f32_e32 v18, v49, v47
	v_add_f32_e32 v9, v49, v47
	v_fma_f32 v8, -0.5, v8, v14
	v_sub_f32_e32 v19, v48, v46
	v_dual_add_f32 v1, v0, v47 :: v_dual_add_f32 v0, v14, v48
	s_delay_alu instid0(VALU_DEP_4) | instskip(NEXT) | instid1(VALU_DEP_4)
	v_fma_f32 v9, -0.5, v9, v15
	v_fmamk_f32 v14, v18, 0xbf5db3d7, v8
	v_fmac_f32_e32 v8, 0x3f5db3d7, v18
	scratch_load_b32 v18, off, off offset:316 ; 4-byte Folded Reload
	v_dual_add_f32 v0, v0, v46 :: v_dual_fmamk_f32 v15, v19, 0x3f5db3d7, v9
	v_fmac_f32_e32 v9, 0xbf5db3d7, v19
	s_waitcnt vmcnt(1)
	ds_store_2addr_b64 v21, v[0:1], v[14:15] offset1:81
	ds_store_b64 v21, v[8:9] offset:1296
	v_dual_add_f32 v0, v24, v44 :: v_dual_add_f32 v9, v41, v45
	v_add_f32_e32 v8, v16, v24
	v_dual_sub_f32 v14, v41, v45 :: v_dual_sub_f32 v15, v24, v44
	s_delay_alu instid0(VALU_DEP_3) | instskip(SKIP_2) | instid1(VALU_DEP_2)
	v_fma_f32 v16, -0.5, v0, v16
	v_add_f32_e32 v0, v17, v41
	v_fmac_f32_e32 v17, -0.5, v9
	v_add_f32_e32 v1, v0, v45
	v_add_f32_e32 v0, v8, v44
	v_fmamk_f32 v8, v14, 0xbf5db3d7, v16
	s_delay_alu instid0(VALU_DEP_4)
	v_dual_fmamk_f32 v9, v15, 0x3f5db3d7, v17 :: v_dual_fmac_f32 v16, 0x3f5db3d7, v14
	v_fmac_f32_e32 v17, 0xbf5db3d7, v15
	v_dual_sub_f32 v15, v40, v27 :: v_dual_sub_f32 v14, v23, v29
	s_waitcnt vmcnt(0)
	ds_store_b64 v18, v[16:17] offset:1296
	scratch_load_b32 v17, off, off offset:336 ; 4-byte Folded Reload
	ds_store_2addr_b64 v18, v[0:1], v[8:9] offset1:81
	v_add_f32_e32 v9, v23, v29
	v_add_f32_e32 v0, v11, v23
	;; [unrolled: 1-line block ×3, first 2 shown]
	v_sub_f32_e32 v18, v34, v32
	s_delay_alu instid0(VALU_DEP_4) | instskip(NEXT) | instid1(VALU_DEP_4)
	v_fma_f32 v9, -0.5, v9, v11
	v_add_f32_e32 v1, v0, v29
	s_delay_alu instid0(VALU_DEP_4) | instskip(NEXT) | instid1(VALU_DEP_3)
	v_fma_f32 v8, -0.5, v8, v10
	v_fmamk_f32 v11, v15, 0x3f5db3d7, v9
	v_fmac_f32_e32 v9, 0xbf5db3d7, v15
	v_add_f32_e32 v15, v34, v32
	v_add_f32_e32 v0, v10, v40
	v_fmamk_f32 v10, v14, 0xbf5db3d7, v8
	v_fmac_f32_e32 v8, 0x3f5db3d7, v14
	v_sub_f32_e32 v14, v36, v38
	s_delay_alu instid0(VALU_DEP_4)
	v_add_f32_e32 v0, v0, v27
	s_waitcnt vmcnt(0)
	v_add_nc_u32_e32 v16, 0x1400, v17
	ds_store_b64 v17, v[8:9] offset:7128
	v_add_f32_e32 v17, v2, v33
	ds_store_2addr_b64 v16, v[0:1], v[10:11] offset0:89 offset1:170
	v_add_f32_e32 v0, v31, v28
	v_sub_f32_e32 v16, v35, v37
	v_dual_add_f32 v8, v12, v31 :: v_dual_add_f32 v1, v13, v25
	v_sub_f32_e32 v11, v31, v28
	s_delay_alu instid0(VALU_DEP_4) | instskip(SKIP_3) | instid1(VALU_DEP_3)
	v_fma_f32 v12, -0.5, v0, v12
	v_add_f32_e32 v0, v25, v26
	v_sub_f32_e32 v10, v25, v26
	v_add_f32_e32 v1, v1, v26
	v_fmac_f32_e32 v13, -0.5, v0
	v_add_f32_e32 v0, v8, v28
	s_delay_alu instid0(VALU_DEP_4)
	v_fmamk_f32 v8, v10, 0xbf5db3d7, v12
	v_fmac_f32_e32 v12, 0x3f5db3d7, v10
	v_add_f32_e32 v10, v43, v39
	v_fmamk_f32 v9, v11, 0x3f5db3d7, v13
	v_fmac_f32_e32 v13, 0xbf5db3d7, v11
	scratch_load_b32 v11, off, off offset:360 ; 4-byte Folded Reload
	s_waitcnt vmcnt(0)
	ds_store_2addr_b64 v11, v[0:1], v[8:9] offset1:81
	ds_store_b64 v11, v[12:13] offset:1296
	v_add_f32_e32 v1, v4, v43
	v_fma_f32 v4, -0.5, v10, v4
	v_sub_f32_e32 v9, v30, v42
	v_add_f32_e32 v11, v36, v38
	v_add_f32_e32 v0, v30, v42
	;; [unrolled: 1-line block ×3, first 2 shown]
	v_sub_f32_e32 v10, v43, v39
	v_fmamk_f32 v12, v9, 0xbf5db3d7, v4
	v_dual_fmac_f32 v4, 0x3f5db3d7, v9 :: v_dual_add_f32 v9, v7, v36
	v_fmac_f32_e32 v7, -0.5, v11
	v_add_f32_e32 v11, v33, v20
	v_fma_f32 v5, -0.5, v0, v5
	v_dual_add_f32 v0, v1, v39 :: v_dual_add_f32 v1, v8, v42
	v_add_f32_e32 v8, v35, v37
	s_delay_alu instid0(VALU_DEP_4)
	v_fma_f32 v2, -0.5, v11, v2
	v_fmamk_f32 v11, v16, 0x3f5db3d7, v7
	v_fmac_f32_e32 v7, 0xbf5db3d7, v16
	scratch_load_b32 v16, off, off offset:304 ; 4-byte Folded Reload
	v_fmamk_f32 v13, v10, 0x3f5db3d7, v5
	v_dual_fmac_f32 v5, 0xbf5db3d7, v10 :: v_dual_add_f32 v10, v6, v35
	v_fma_f32 v6, -0.5, v8, v6
	s_delay_alu instid0(VALU_DEP_2) | instskip(NEXT) | instid1(VALU_DEP_2)
	v_dual_add_f32 v9, v9, v38 :: v_dual_add_f32 v8, v10, v37
	v_fmamk_f32 v10, v14, 0xbf5db3d7, v6
	v_fmac_f32_e32 v6, 0x3f5db3d7, v14
	v_dual_add_f32 v14, v3, v34 :: v_dual_fmac_f32 v3, -0.5, v15
	s_delay_alu instid0(VALU_DEP_1)
	v_add_f32_e32 v15, v14, v32
	v_add_f32_e32 v14, v17, v20
	v_sub_f32_e32 v17, v33, v20
	s_waitcnt vmcnt(0)
	ds_store_2addr_b64 v16, v[0:1], v[12:13] offset1:81
	scratch_load_b32 v13, off, off offset:364 ; 4-byte Folded Reload
	ds_store_b64 v16, v[4:5] offset:1296
	scratch_load_b32 v4, off, off offset:368 ; 4-byte Folded Reload
	v_fmamk_f32 v0, v18, 0xbf5db3d7, v2
	v_dual_fmamk_f32 v1, v17, 0x3f5db3d7, v3 :: v_dual_fmac_f32 v2, 0x3f5db3d7, v18
	v_fmac_f32_e32 v3, 0xbf5db3d7, v17
	s_waitcnt vmcnt(1)
	v_add_nc_u32_e32 v12, 0x2c00, v13
	s_waitcnt vmcnt(0)
	ds_store_2addr_b64 v4, v[8:9], v[10:11] offset1:81
	ds_store_b64 v4, v[6:7] offset:1296
	ds_store_2addr_b64 v12, v[14:15], v[0:1] offset0:50 offset1:131
	ds_store_b64 v13, v[2:3] offset:12960
	s_waitcnt lgkmcnt(0)
	s_barrier
	buffer_gl0_inv
	ds_load_2addr_b64 v[48:51], v241 offset0:102 offset1:165
	ds_load_2addr_b64 v[24:27], v201 offset0:100 offset1:217
	ds_load_b64 v[4:5], v255 offset:12672
	ds_load_2addr_b64 v[56:59], v242 offset0:76 offset1:139
	ds_load_2addr_b64 v[28:31], v199 offset0:74 offset1:191
	;; [unrolled: 1-line block ×4, first 2 shown]
	ds_load_2addr_b64 v[20:23], v255 offset1:63
	ds_load_2addr_b64 v[16:19], v255 offset0:126 offset1:243
	ds_load_2addr_b64 v[44:47], v198 offset0:50 offset1:113
	;; [unrolled: 1-line block ×3, first 2 shown]
	s_and_saveexec_b32 s0, vcc_lo
	s_cbranch_execz .LBB0_7
; %bb.6:
	v_add_nc_u32_e32 v6, 0x1500, v255
	ds_load_2addr_b64 v[0:3], v200 offset0:9 offset1:252
	ds_load_2addr_b64 v[12:15], v6 offset0:3 offset1:246
	ds_load_b64 v[7:8], v255 offset:13176
	v_add_nc_u32_e32 v6, 0x5c0, v255
	s_waitcnt lgkmcnt(0)
	scratch_store_b64 off, v[7:8], off offset:4 ; 8-byte Folded Spill
	v_mov_b32_e32 v7, v13
	ds_load_2addr_b64 v[8:11], v6 offset0:5 offset1:248
	v_mov_b32_e32 v6, v12
.LBB0_7:
	s_or_b32 exec_lo, exec_lo, s0
	s_waitcnt lgkmcnt(2)
	v_dual_mul_f32 v12, v85, v19 :: v_dual_mul_f32 v65, v87, v48
	v_dual_mul_f32 v13, v85, v18 :: v_dual_mul_f32 v64, v87, v49
	v_mul_f32_e32 v66, v77, v27
	s_delay_alu instid0(VALU_DEP_3) | instskip(NEXT) | instid1(VALU_DEP_3)
	v_fmac_f32_e32 v12, v84, v18
	v_fma_f32 v13, v84, v19, -v13
	v_fma_f32 v19, v86, v49, -v65
	v_dual_mul_f32 v65, v91, v41 :: v_dual_mul_f32 v18, v77, v26
	v_dual_fmac_f32 v64, v86, v48 :: v_dual_mul_f32 v49, v89, v30
	s_delay_alu instid0(VALU_DEP_2) | instskip(NEXT) | instid1(VALU_DEP_3)
	v_dual_mul_f32 v48, v89, v31 :: v_dual_fmac_f32 v65, v90, v40
	v_fma_f32 v18, v76, v27, -v18
	v_dual_mul_f32 v27, v79, v56 :: v_dual_fmac_f32 v66, v76, v26
	v_mul_f32_e32 v26, v79, v57
	s_delay_alu instid0(VALU_DEP_2)
	v_fma_f32 v27, v78, v57, -v27
	v_mul_f32_e32 v57, v63, v50
	v_fmac_f32_e32 v48, v88, v30
	v_fma_f32 v30, v88, v31, -v49
	s_waitcnt lgkmcnt(1)
	v_dual_mul_f32 v31, v91, v40 :: v_dual_mul_f32 v40, v61, v45
	v_mul_f32_e32 v49, v61, v44
	v_fmac_f32_e32 v26, v78, v56
	v_mul_f32_e32 v56, v63, v51
	s_delay_alu instid0(VALU_DEP_4)
	v_fma_f32 v31, v90, v41, -v31
	v_fmac_f32_e32 v40, v60, v44
	v_fma_f32 v41, v60, v45, -v49
	v_fma_f32 v44, v62, v51, -v57
	v_mul_f32_e32 v45, v73, v37
	v_mul_f32_e32 v49, v73, v36
	;; [unrolled: 1-line block ×3, first 2 shown]
	s_waitcnt lgkmcnt(0)
	v_dual_mul_f32 v57, v53, v33 :: v_dual_fmac_f32 v56, v62, v50
	v_dual_fmac_f32 v45, v72, v36 :: v_dual_mul_f32 v50, v75, v59
	v_fma_f32 v36, v72, v37, -v49
	s_delay_alu instid0(VALU_DEP_3)
	v_fmac_f32_e32 v57, v52, v32
	v_fma_f32 v37, v74, v59, -v51
	v_dual_mul_f32 v32, v53, v32 :: v_dual_mul_f32 v51, v55, v42
	v_dual_fmac_f32 v50, v74, v58 :: v_dual_mul_f32 v53, v81, v47
	v_mul_f32_e32 v49, v55, v43
	v_mul_f32_e32 v55, v81, v46
	s_delay_alu instid0(VALU_DEP_4)
	v_fma_f32 v32, v52, v33, -v32
	v_fma_f32 v33, v54, v43, -v51
	v_mul_f32_e32 v43, v83, v25
	v_dual_fmac_f32 v49, v54, v42 :: v_dual_mul_f32 v52, v71, v29
	v_dual_fmac_f32 v53, v80, v46 :: v_dual_mul_f32 v46, v83, v24
	v_fma_f32 v42, v80, v47, -v55
	v_mul_f32_e32 v47, v69, v39
	v_dual_mul_f32 v54, v189, v35 :: v_dual_fmac_f32 v43, v82, v24
	v_mul_f32_e32 v24, v71, v28
	v_mul_f32_e32 v55, v191, v5
	v_mul_f32_e32 v51, v69, v38
	v_fma_f32 v46, v82, v25, -v46
	v_fmac_f32_e32 v52, v70, v28
	v_dual_mul_f32 v28, v191, v4 :: v_dual_mul_f32 v25, v189, v34
	v_fma_f32 v58, v70, v29, -v24
	v_add_f32_e32 v24, v64, v48
	v_dual_fmac_f32 v55, v190, v4 :: v_dual_add_f32 v4, v12, v65
	v_sub_f32_e32 v12, v12, v65
	v_fmac_f32_e32 v47, v68, v38
	v_fma_f32 v59, v188, v35, -v25
	v_fma_f32 v60, v190, v5, -v28
	v_dual_add_f32 v5, v13, v31 :: v_dual_sub_f32 v28, v64, v48
	v_sub_f32_e32 v13, v13, v31
	v_add_f32_e32 v25, v19, v30
	v_add_f32_e32 v29, v66, v26
	v_dual_sub_f32 v19, v19, v30 :: v_dual_add_f32 v30, v18, v27
	v_sub_f32_e32 v26, v26, v66
	v_dual_sub_f32 v18, v27, v18 :: v_dual_add_f32 v27, v24, v4
	v_fmac_f32_e32 v54, v188, v34
	v_dual_sub_f32 v34, v24, v4 :: v_dual_add_f32 v31, v25, v5
	s_delay_alu instid0(VALU_DEP_4)
	v_dual_sub_f32 v35, v25, v5 :: v_dual_sub_f32 v48, v26, v28
	v_sub_f32_e32 v38, v4, v29
	v_add_f32_e32 v4, v26, v28
	v_dual_sub_f32 v28, v28, v12 :: v_dual_add_f32 v27, v29, v27
	v_fma_f32 v51, v68, v39, -v51
	v_sub_f32_e32 v39, v5, v30
	v_dual_sub_f32 v24, v29, v24 :: v_dual_sub_f32 v25, v30, v25
	v_dual_add_f32 v5, v18, v19 :: v_dual_sub_f32 v26, v12, v26
	v_dual_sub_f32 v61, v18, v19 :: v_dual_sub_f32 v18, v13, v18
	s_delay_alu instid0(VALU_DEP_3) | instskip(SKIP_3) | instid1(VALU_DEP_4)
	v_dual_add_f32 v29, v30, v31 :: v_dual_mul_f32 v30, 0x3d64c772, v24
	v_dual_sub_f32 v19, v19, v13 :: v_dual_add_f32 v12, v4, v12
	v_add_f32_e32 v4, v20, v27
	v_dual_mul_f32 v20, 0x3f4a47b2, v38 :: v_dual_add_f32 v13, v5, v13
	v_dual_mul_f32 v38, 0x3f08b237, v48 :: v_dual_add_f32 v5, v21, v29
	v_mul_f32_e32 v48, 0xbf5ff5aa, v28
	v_mul_f32_e32 v21, 0x3f4a47b2, v39
	s_delay_alu instid0(VALU_DEP_4) | instskip(SKIP_2) | instid1(VALU_DEP_4)
	v_dual_mul_f32 v31, 0x3d64c772, v25 :: v_dual_fmamk_f32 v24, v24, 0x3d64c772, v20
	v_fmamk_f32 v27, v27, 0xbf955555, v4
	v_mul_f32_e32 v39, 0x3f08b237, v61
	v_fmamk_f32 v25, v25, 0x3d64c772, v21
	v_fma_f32 v30, 0x3f3bfb3b, v34, -v30
	v_fmamk_f32 v29, v29, 0xbf955555, v5
	v_fma_f32 v20, 0xbf3bfb3b, v34, -v20
	;; [unrolled: 2-line block ×3, first 2 shown]
	v_fma_f32 v38, 0xbf5ff5aa, v19, -v39
	v_fma_f32 v31, 0x3f3bfb3b, v35, -v31
	;; [unrolled: 1-line block ×3, first 2 shown]
	v_fmamk_f32 v35, v18, 0xbeae86e6, v39
	v_fma_f32 v39, 0x3eae86e6, v26, -v48
	v_add_f32_e32 v48, v24, v27
	v_add_f32_e32 v24, v30, v27
	v_fmac_f32_e32 v38, 0xbee1c552, v13
	v_mul_f32_e32 v61, 0xbf5ff5aa, v19
	v_dual_add_f32 v27, v20, v27 :: v_dual_fmac_f32 v28, 0xbee1c552, v12
	s_delay_alu instid0(VALU_DEP_3) | instskip(NEXT) | instid1(VALU_DEP_3)
	v_dual_fmac_f32 v39, 0xbee1c552, v12 :: v_dual_sub_f32 v20, v24, v38
	v_fma_f32 v26, 0x3eae86e6, v18, -v61
	v_add_f32_e32 v30, v40, v49
	s_delay_alu instid0(VALU_DEP_2) | instskip(NEXT) | instid1(VALU_DEP_1)
	v_fmac_f32_e32 v26, 0xbee1c552, v13
	v_dual_add_f32 v18, v26, v27 :: v_dual_add_f32 v61, v25, v29
	v_dual_add_f32 v25, v31, v29 :: v_dual_fmac_f32 v34, 0xbee1c552, v12
	v_dual_sub_f32 v26, v27, v26 :: v_dual_fmac_f32 v35, 0xbee1c552, v13
	s_delay_alu instid0(VALU_DEP_2) | instskip(SKIP_1) | instid1(VALU_DEP_3)
	v_dual_sub_f32 v13, v61, v34 :: v_dual_add_f32 v24, v38, v24
	v_dual_add_f32 v38, v44, v32 :: v_dual_add_f32 v29, v21, v29
	v_dual_add_f32 v12, v35, v48 :: v_dual_add_f32 v21, v28, v25
	v_dual_sub_f32 v25, v25, v28 :: v_dual_sub_f32 v28, v48, v35
	s_delay_alu instid0(VALU_DEP_3)
	v_sub_f32_e32 v19, v29, v39
	v_dual_add_f32 v27, v39, v29 :: v_dual_sub_f32 v32, v44, v32
	v_add_f32_e32 v29, v34, v61
	v_sub_f32_e32 v34, v40, v49
	v_add_f32_e32 v35, v56, v57
	v_add_f32_e32 v31, v41, v33
	;; [unrolled: 1-line block ×3, first 2 shown]
	v_sub_f32_e32 v33, v41, v33
	v_dual_add_f32 v41, v36, v37 :: v_dual_sub_f32 v36, v37, v36
	v_sub_f32_e32 v44, v50, v45
	v_dual_sub_f32 v48, v35, v30 :: v_dual_add_f32 v45, v38, v31
	s_delay_alu instid0(VALU_DEP_3)
	v_dual_sub_f32 v49, v38, v31 :: v_dual_sub_f32 v38, v41, v38
	v_add_f32_e32 v37, v35, v30
	v_dual_sub_f32 v39, v56, v57 :: v_dual_sub_f32 v30, v30, v40
	v_add_f32_e32 v56, v36, v32
	v_sub_f32_e32 v61, v36, v32
	v_dual_sub_f32 v36, v33, v36 :: v_dual_sub_f32 v31, v31, v41
	s_delay_alu instid0(VALU_DEP_4) | instskip(SKIP_2) | instid1(VALU_DEP_4)
	v_add_f32_e32 v50, v44, v39
	v_sub_f32_e32 v35, v40, v35
	v_sub_f32_e32 v32, v32, v33
	v_dual_mul_f32 v30, 0x3f4a47b2, v30 :: v_dual_mul_f32 v31, 0x3f4a47b2, v31
	v_add_f32_e32 v37, v40, v37
	v_dual_add_f32 v40, v41, v45 :: v_dual_mul_f32 v45, 0x3d64c772, v38
	s_delay_alu instid0(VALU_DEP_3) | instskip(NEXT) | instid1(VALU_DEP_3)
	v_dual_fmamk_f32 v38, v38, 0x3d64c772, v31 :: v_dual_sub_f32 v57, v44, v39
	v_add_f32_e32 v22, v22, v37
	v_dual_sub_f32 v44, v34, v44 :: v_dual_sub_f32 v39, v39, v34
	s_delay_alu instid0(VALU_DEP_4) | instskip(NEXT) | instid1(VALU_DEP_4)
	v_dual_add_f32 v23, v23, v40 :: v_dual_add_f32 v34, v50, v34
	v_mul_f32_e32 v50, 0x3f08b237, v57
	s_delay_alu instid0(VALU_DEP_4) | instskip(SKIP_1) | instid1(VALU_DEP_4)
	v_fmamk_f32 v37, v37, 0xbf955555, v22
	v_fma_f32 v45, 0x3f3bfb3b, v49, -v45
	v_fmamk_f32 v40, v40, 0xbf955555, v23
	v_add_f32_e32 v33, v56, v33
	v_mul_f32_e32 v56, 0x3f08b237, v61
	v_mul_f32_e32 v61, 0xbf5ff5aa, v32
	v_fma_f32 v31, 0xbf3bfb3b, v49, -v31
	v_mul_f32_e32 v41, 0x3d64c772, v35
	v_mul_f32_e32 v57, 0xbf5ff5aa, v39
	v_fmamk_f32 v35, v35, 0x3d64c772, v30
	v_fma_f32 v30, 0xbf3bfb3b, v48, -v30
	v_fmamk_f32 v49, v36, 0xbeae86e6, v56
	v_fma_f32 v41, 0x3f3bfb3b, v48, -v41
	;; [unrolled: 2-line block ×3, first 2 shown]
	v_fma_f32 v50, 0xbf5ff5aa, v32, -v56
	v_fma_f32 v56, 0x3eae86e6, v36, -v61
	v_dual_add_f32 v61, v38, v40 :: v_dual_add_f32 v36, v41, v37
	v_dual_add_f32 v38, v45, v40 :: v_dual_add_f32 v41, v30, v37
	v_fmac_f32_e32 v48, 0xbee1c552, v34
	s_delay_alu instid0(VALU_DEP_4) | instskip(SKIP_1) | instid1(VALU_DEP_2)
	v_dual_fmac_f32 v39, 0xbee1c552, v34 :: v_dual_fmac_f32 v56, 0xbee1c552, v33
	v_add_f32_e32 v40, v31, v40
	v_dual_sub_f32 v31, v61, v48 :: v_dual_add_f32 v32, v56, v41
	v_fma_f32 v44, 0x3eae86e6, v44, -v57
	s_delay_alu instid0(VALU_DEP_1) | instskip(SKIP_1) | instid1(VALU_DEP_1)
	v_fmac_f32_e32 v44, 0xbee1c552, v34
	v_fmac_f32_e32 v50, 0xbee1c552, v33
	v_sub_f32_e32 v34, v36, v50
	v_dual_add_f32 v36, v50, v36 :: v_dual_add_f32 v57, v35, v37
	v_add_f32_e32 v35, v39, v38
	v_dual_sub_f32 v37, v38, v39 :: v_dual_sub_f32 v38, v41, v56
	v_fmac_f32_e32 v49, 0xbee1c552, v33
	v_sub_f32_e32 v33, v40, v44
	v_add_f32_e32 v39, v44, v40
	v_dual_add_f32 v41, v48, v61 :: v_dual_add_f32 v44, v53, v55
	s_delay_alu instid0(VALU_DEP_4)
	v_add_f32_e32 v30, v49, v57
	v_sub_f32_e32 v40, v57, v49
	v_dual_sub_f32 v48, v53, v55 :: v_dual_add_f32 v49, v43, v54
	v_dual_add_f32 v50, v46, v59 :: v_dual_sub_f32 v43, v43, v54
	v_sub_f32_e32 v46, v46, v59
	v_add_f32_e32 v54, v51, v58
	v_add_f32_e32 v53, v47, v52
	;; [unrolled: 1-line block ×3, first 2 shown]
	v_dual_sub_f32 v47, v52, v47 :: v_dual_add_f32 v52, v49, v44
	v_dual_sub_f32 v51, v58, v51 :: v_dual_sub_f32 v56, v49, v44
	s_delay_alu instid0(VALU_DEP_4) | instskip(NEXT) | instid1(VALU_DEP_3)
	v_sub_f32_e32 v44, v44, v53
	v_dual_add_f32 v55, v50, v45 :: v_dual_add_f32 v58, v47, v43
	v_sub_f32_e32 v42, v42, v60
	v_dual_sub_f32 v57, v50, v45 :: v_dual_sub_f32 v60, v47, v43
	v_dual_sub_f32 v50, v54, v50 :: v_dual_sub_f32 v49, v53, v49
	v_dual_add_f32 v59, v51, v46 :: v_dual_add_f32 v52, v53, v52
	v_add_f32_e32 v53, v54, v55
	v_sub_f32_e32 v45, v45, v54
	v_sub_f32_e32 v61, v51, v46
	;; [unrolled: 1-line block ×3, first 2 shown]
	v_dual_sub_f32 v51, v42, v51 :: v_dual_mul_f32 v44, 0x3f4a47b2, v44
	v_dual_sub_f32 v46, v46, v42 :: v_dual_sub_f32 v43, v43, v48
	v_mul_f32_e32 v54, 0x3d64c772, v49
	v_add_f32_e32 v48, v58, v48
	v_add_f32_e32 v16, v16, v52
	v_dual_mul_f32 v58, 0x3f08b237, v60 :: v_dual_add_f32 v17, v17, v53
	v_mul_f32_e32 v60, 0xbf5ff5aa, v43
	v_add_f32_e32 v42, v59, v42
	s_delay_alu instid0(VALU_DEP_4)
	v_fmamk_f32 v52, v52, 0xbf955555, v16
	v_mul_f32_e32 v59, 0x3f08b237, v61
	v_fmamk_f32 v53, v53, 0xbf955555, v17
	v_fmamk_f32 v49, v49, 0x3d64c772, v44
	v_fma_f32 v44, 0xbf3bfb3b, v56, -v44
	v_mul_f32_e32 v45, 0x3f4a47b2, v45
	v_mul_f32_e32 v55, 0x3d64c772, v50
	v_fma_f32 v54, 0x3f3bfb3b, v56, -v54
	v_fma_f32 v60, 0x3eae86e6, v47, -v60
	s_delay_alu instid0(VALU_DEP_4) | instskip(SKIP_3) | instid1(VALU_DEP_4)
	v_fmamk_f32 v50, v50, 0x3d64c772, v45
	v_mul_f32_e32 v61, 0xbf5ff5aa, v46
	v_fma_f32 v55, 0x3f3bfb3b, v57, -v55
	v_fma_f32 v45, 0xbf3bfb3b, v57, -v45
	v_dual_fmamk_f32 v57, v51, 0xbeae86e6, v59 :: v_dual_add_f32 v62, v50, v53
	s_delay_alu instid0(VALU_DEP_4) | instskip(NEXT) | instid1(VALU_DEP_4)
	v_fma_f32 v51, 0x3eae86e6, v51, -v61
	v_add_f32_e32 v50, v55, v53
	v_dual_fmamk_f32 v56, v47, 0xbeae86e6, v58 :: v_dual_add_f32 v61, v49, v52
	v_add_f32_e32 v49, v54, v52
	s_delay_alu instid0(VALU_DEP_4) | instskip(SKIP_3) | instid1(VALU_DEP_4)
	v_dual_add_f32 v52, v44, v52 :: v_dual_fmac_f32 v51, 0xbee1c552, v42
	v_fmac_f32_e32 v60, 0xbee1c552, v48
	v_fma_f32 v58, 0xbf5ff5aa, v43, -v58
	v_dual_add_f32 v53, v45, v53 :: v_dual_fmac_f32 v56, 0xbee1c552, v48
	v_add_f32_e32 v44, v51, v52
	v_fma_f32 v59, 0xbf5ff5aa, v46, -v59
	s_delay_alu instid0(VALU_DEP_4) | instskip(NEXT) | instid1(VALU_DEP_4)
	v_fmac_f32_e32 v58, 0xbee1c552, v48
	v_sub_f32_e32 v45, v53, v60
	s_delay_alu instid0(VALU_DEP_3) | instskip(NEXT) | instid1(VALU_DEP_1)
	v_fmac_f32_e32 v59, 0xbee1c552, v42
	v_dual_sub_f32 v46, v49, v59 :: v_dual_fmac_f32 v57, 0xbee1c552, v42
	s_delay_alu instid0(VALU_DEP_1)
	v_dual_add_f32 v47, v58, v50 :: v_dual_add_f32 v42, v57, v61
	v_dual_sub_f32 v43, v62, v56 :: v_dual_add_f32 v48, v59, v49
	v_dual_sub_f32 v49, v50, v58 :: v_dual_sub_f32 v50, v52, v51
	v_add_f32_e32 v51, v60, v53
	v_dual_sub_f32 v52, v61, v57 :: v_dual_add_f32 v53, v56, v62
	ds_store_b64 v255, v[12:13] offset:1944
	ds_store_b64 v255, v[18:19] offset:3888
	;; [unrolled: 1-line block ×6, first 2 shown]
	ds_store_2addr_b64 v255, v[4:5], v[22:23] offset1:63
	ds_store_b64 v255, v[34:35] offset:6336
	ds_store_b64 v255, v[36:37] offset:8280
	;; [unrolled: 1-line block ×6, first 2 shown]
	ds_store_2addr_b64 v198, v[30:31], v[42:43] offset0:50 offset1:113
	ds_store_b64 v255, v[44:45] offset:4896
	ds_store_b64 v255, v[46:47] offset:6840
	ds_store_b64 v255, v[48:49] offset:8784
	ds_store_b64 v255, v[50:51] offset:10728
	ds_store_b64 v255, v[52:53] offset:12672
	s_and_saveexec_b32 s0, vcc_lo
	s_cbranch_execz .LBB0_9
; %bb.8:
	s_clause 0x1
	scratch_load_b128 v[24:27], off, off offset:492
	scratch_load_b64 v[22:23], off, off offset:4
	v_dual_mul_f32 v5, v163, v1 :: v_dual_mul_f32 v12, v161, v15
	s_delay_alu instid0(VALU_DEP_1) | instskip(NEXT) | instid1(VALU_DEP_1)
	v_dual_fmac_f32 v5, v162, v0 :: v_dual_fmac_f32 v12, v160, v14
	v_dual_sub_f32 v18, v5, v12 :: v_dual_add_f32 v5, v12, v5
	s_waitcnt vmcnt(1)
	v_mul_f32_e32 v4, v25, v11
	v_mul_f32_e32 v13, v27, v7
	s_delay_alu instid0(VALU_DEP_1) | instskip(SKIP_1) | instid1(VALU_DEP_1)
	v_dual_mul_f32 v16, v165, v3 :: v_dual_fmac_f32 v13, v26, v6
	s_waitcnt vmcnt(0)
	v_dual_mul_f32 v17, v167, v23 :: v_dual_fmac_f32 v16, v164, v2
	v_fmac_f32_e32 v4, v24, v10
	v_mul_f32_e32 v2, v165, v2
	v_mul_f32_e32 v6, v27, v6
	s_delay_alu instid0(VALU_DEP_4) | instskip(SKIP_3) | instid1(VALU_DEP_3)
	v_fmac_f32_e32 v17, v166, v22
	v_dual_sub_f32 v19, v13, v16 :: v_dual_mul_f32 v20, v167, v22
	v_add_f32_e32 v13, v16, v13
	v_fma_f32 v2, v164, v3, -v2
	v_dual_sub_f32 v21, v4, v17 :: v_dual_sub_f32 v22, v18, v19
	s_delay_alu instid0(VALU_DEP_4) | instskip(SKIP_2) | instid1(VALU_DEP_4)
	v_fma_f32 v20, v166, v23, -v20
	v_mul_f32_e32 v0, v163, v0
	v_fma_f32 v3, v26, v7, -v6
	v_dual_sub_f32 v23, v21, v18 :: v_dual_add_f32 v6, v18, v19
	v_sub_f32_e32 v19, v19, v21
	s_delay_alu instid0(VALU_DEP_4) | instskip(SKIP_3) | instid1(VALU_DEP_2)
	v_fma_f32 v0, v162, v1, -v0
	v_mul_f32_e32 v22, 0x3f08b237, v22
	v_mul_f32_e32 v10, v25, v10
	v_add_f32_e32 v6, v6, v21
	v_fma_f32 v10, v24, v11, -v10
	v_mul_f32_e32 v11, v161, v14
	s_delay_alu instid0(VALU_DEP_2) | instskip(NEXT) | instid1(VALU_DEP_2)
	v_add_f32_e32 v7, v20, v10
	v_fma_f32 v11, v160, v15, -v11
	s_delay_alu instid0(VALU_DEP_1) | instskip(SKIP_2) | instid1(VALU_DEP_2)
	v_add_f32_e32 v1, v11, v0
	v_dual_fmamk_f32 v15, v23, 0xbeae86e6, v22 :: v_dual_add_f32 v14, v2, v3
	v_dual_sub_f32 v11, v0, v11 :: v_dual_sub_f32 v2, v3, v2
	v_dual_add_f32 v4, v17, v4 :: v_dual_fmac_f32 v15, 0xbee1c552, v6
	s_delay_alu instid0(VALU_DEP_2) | instskip(SKIP_2) | instid1(VALU_DEP_3)
	v_dual_add_f32 v18, v14, v7 :: v_dual_sub_f32 v3, v11, v2
	v_sub_f32_e32 v24, v7, v1
	v_sub_f32_e32 v16, v1, v14
	v_dual_add_f32 v18, v1, v18 :: v_dual_sub_f32 v7, v14, v7
	s_delay_alu instid0(VALU_DEP_4) | instskip(NEXT) | instid1(VALU_DEP_2)
	v_mul_f32_e32 v25, 0x3f08b237, v3
	v_add_f32_e32 v1, v9, v18
	v_add_f32_e32 v9, v13, v4
	v_mul_f32_e32 v17, 0x3f4a47b2, v24
	v_mul_f32_e32 v12, 0x3d64c772, v16
	s_delay_alu instid0(VALU_DEP_3) | instskip(NEXT) | instid1(VALU_DEP_3)
	v_dual_fmamk_f32 v18, v18, 0xbf955555, v1 :: v_dual_add_f32 v9, v5, v9
	v_fmamk_f32 v16, v16, 0x3d64c772, v17
	s_delay_alu instid0(VALU_DEP_2) | instskip(SKIP_1) | instid1(VALU_DEP_3)
	v_add_f32_e32 v0, v8, v9
	v_sub_f32_e32 v24, v4, v5
	v_dual_sub_f32 v5, v5, v13 :: v_dual_add_f32 v16, v16, v18
	v_sub_f32_e32 v8, v10, v20
	v_sub_f32_e32 v4, v13, v4
	s_delay_alu instid0(VALU_DEP_3) | instskip(SKIP_3) | instid1(VALU_DEP_2)
	v_add_f32_e32 v3, v15, v16
	v_fmamk_f32 v9, v9, 0xbf955555, v0
	v_mul_f32_e32 v24, 0x3f4a47b2, v24
	v_sub_f32_e32 v20, v8, v11
	v_dual_fmamk_f32 v10, v5, 0x3d64c772, v24 :: v_dual_mul_f32 v5, 0x3d64c772, v5
	v_dual_sub_f32 v13, v2, v8 :: v_dual_add_f32 v2, v11, v2
	v_fma_f32 v11, 0xbf3bfb3b, v7, -v17
	v_fma_f32 v7, 0x3f3bfb3b, v7, -v12
	s_delay_alu instid0(VALU_DEP_4) | instskip(NEXT) | instid1(VALU_DEP_4)
	v_add_f32_e32 v21, v10, v9
	v_mul_f32_e32 v17, 0xbf5ff5aa, v13
	v_fma_f32 v12, 0xbf5ff5aa, v13, -v25
	v_dual_add_f32 v11, v11, v18 :: v_dual_fmamk_f32 v26, v20, 0xbeae86e6, v25
	v_dual_add_f32 v13, v7, v18 :: v_dual_add_f32 v2, v2, v8
	v_fma_f32 v8, 0xbf5ff5aa, v19, -v22
	v_fma_f32 v17, 0x3eae86e6, v20, -v17
	s_delay_alu instid0(VALU_DEP_2) | instskip(SKIP_1) | instid1(VALU_DEP_3)
	v_fmac_f32_e32 v8, 0xbee1c552, v6
	v_mul_f32_e32 v10, 0xbf5ff5aa, v19
	v_fmac_f32_e32 v17, 0xbee1c552, v2
	v_fma_f32 v14, 0xbf3bfb3b, v4, -v24
	v_fma_f32 v4, 0x3f3bfb3b, v4, -v5
	v_sub_f32_e32 v7, v13, v8
	v_fma_f32 v10, 0x3eae86e6, v23, -v10
	s_delay_alu instid0(VALU_DEP_3) | instskip(NEXT) | instid1(VALU_DEP_2)
	v_add_f32_e32 v18, v4, v9
	v_fmac_f32_e32 v10, 0xbee1c552, v6
	v_add_f32_e32 v14, v14, v9
	v_dual_add_f32 v9, v8, v13 :: v_dual_fmac_f32 v12, 0xbee1c552, v2
	v_dual_fmac_f32 v26, 0xbee1c552, v2 :: v_dual_sub_f32 v13, v16, v15
	s_delay_alu instid0(VALU_DEP_4) | instskip(NEXT) | instid1(VALU_DEP_4)
	v_add_f32_e32 v5, v10, v11
	v_dual_sub_f32 v11, v11, v10 :: v_dual_sub_f32 v4, v14, v17
	v_add_f32_e32 v10, v17, v14
	v_add_nc_u32_e32 v14, 0x5c0, v255
	v_dual_add_f32 v6, v12, v18 :: v_dual_add_nc_u32 v15, 0x1500, v255
	v_sub_f32_e32 v8, v18, v12
	v_add_f32_e32 v12, v26, v21
	v_add_nc_u32_e32 v16, 0x2400, v255
	v_sub_f32_e32 v2, v21, v26
	ds_store_2addr_b64 v14, v[0:1], v[12:13] offset0:5 offset1:248
	ds_store_2addr_b64 v15, v[10:11], v[8:9] offset0:3 offset1:246
	ds_store_2addr_b64 v16, v[6:7], v[4:5] offset0:9 offset1:252
	ds_store_b64 v255, v[2:3] offset:13176
.LBB0_9:
	s_or_b32 exec_lo, exec_lo, s0
	s_waitcnt lgkmcnt(0)
	s_waitcnt_vscnt null, 0x0
	s_barrier
	buffer_gl0_inv
	ds_load_2addr_b64 v[4:7], v255 offset1:63
	v_add_nc_u32_e32 v0, 0xc00, v255
	v_add_nc_u32_e32 v8, 0x2000, v255
	ds_load_2addr_b64 v[0:3], v0 offset0:120 offset1:183
	ds_load_2addr_b64 v[8:11], v8 offset0:110 offset1:173
	s_clause 0x3
	scratch_load_b64 v[12:13], off, off offset:12
	scratch_load_b64 v[19:20], off, off offset:28
	;; [unrolled: 1-line block ×3, first 2 shown]
	scratch_load_b32 v41, off, off
	s_mov_b32 s0, 0x9c850ab
	s_mov_b32 s1, 0x3f434393
	s_mul_i32 s8, s5, 0x11b8
	s_mul_hi_u32 s9, s4, 0x11b8
	s_delay_alu instid0(SALU_CYCLE_1)
	s_add_i32 s8, s9, s8
	s_waitcnt vmcnt(3)
	v_mov_b32_e32 v40, v12
	s_waitcnt vmcnt(2) lgkmcnt(2)
	v_mul_f32_e32 v16, v20, v5
	v_mul_f32_e32 v17, v20, v4
	ds_load_2addr_b64 v[12:15], v255 offset0:126 offset1:189
	s_waitcnt vmcnt(0)
	v_mad_u64_u32 v[26:27], null, s4, v41, 0
	v_fmac_f32_e32 v16, v19, v4
	v_fma_f32 v4, v19, v5, -v17
	s_waitcnt lgkmcnt(2)
	v_mul_f32_e32 v5, v22, v3
	v_mul_f32_e32 v17, v22, v2
	scratch_load_b64 v[22:23], off, off offset:44 ; 8-byte Folded Reload
	v_add_nc_u32_e32 v18, 0x1000, v255
	v_cvt_f64_f32_e32 v[28:29], v16
	v_fmac_f32_e32 v5, v21, v2
	v_fma_f32 v2, v21, v3, -v17
	v_mad_u64_u32 v[24:25], null, s6, v40, 0
	s_mul_i32 s6, s4, 0x11b8
	s_delay_alu instid0(VALU_DEP_3) | instskip(NEXT) | instid1(VALU_DEP_3)
	v_cvt_f64_f32_e32 v[30:31], v5
	v_cvt_f64_f32_e32 v[32:33], v2
	v_add_nc_u32_e32 v16, 0x2400, v255
	s_delay_alu instid0(VALU_DEP_4) | instskip(NEXT) | instid1(VALU_DEP_1)
	v_mad_u64_u32 v[38:39], null, s7, v40, v[25:26]
	v_mov_b32_e32 v25, v38
	v_mad_u64_u32 v[39:40], null, s5, v41, v[27:28]
	s_waitcnt vmcnt(0) lgkmcnt(1)
	v_mul_f32_e32 v19, v23, v9
	v_mul_f32_e32 v20, v23, v8
	s_delay_alu instid0(VALU_DEP_2) | instskip(NEXT) | instid1(VALU_DEP_2)
	v_fmac_f32_e32 v19, v22, v8
	v_fma_f32 v3, v22, v9, -v20
	v_add_nc_u32_e32 v20, 0x1400, v255
	v_cvt_f64_f32_e32 v[8:9], v4
	s_delay_alu instid0(VALU_DEP_4) | instskip(NEXT) | instid1(VALU_DEP_4)
	v_cvt_f64_f32_e32 v[34:35], v19
	v_cvt_f64_f32_e32 v[36:37], v3
	ds_load_2addr_b64 v[2:5], v18 offset0:118 offset1:181
	ds_load_2addr_b64 v[16:19], v16 offset0:108 offset1:171
	;; [unrolled: 1-line block ×3, first 2 shown]
	s_clause 0x3
	scratch_load_b64 v[44:45], off, off offset:20
	scratch_load_b64 v[58:59], off, off offset:148
	;; [unrolled: 1-line block ×4, first 2 shown]
	v_mul_f64 v[8:9], v[8:9], s[0:1]
	s_waitcnt vmcnt(3)
	v_mul_f32_e32 v41, v45, v6
	v_dual_mul_f32 v40, v45, v7 :: v_dual_mov_b32 v27, v39
	s_waitcnt vmcnt(1) lgkmcnt(2)
	v_mul_f32_e32 v39, v56, v3
	s_delay_alu instid0(VALU_DEP_3)
	v_fma_f32 v38, v44, v7, -v41
	v_mul_f32_e32 v41, v56, v2
	s_clause 0x1
	scratch_load_b64 v[56:57], off, off offset:188
	scratch_load_b64 v[52:53], off, off offset:156
	s_waitcnt vmcnt(2)
	v_mul_f32_e32 v42, v47, v13
	v_dual_mul_f32 v43, v47, v12 :: v_dual_fmac_f32 v40, v44, v6
	v_mul_f64 v[6:7], v[28:29], s[0:1]
	v_mul_f64 v[28:29], v[32:33], s[0:1]
	;; [unrolled: 1-line block ×3, first 2 shown]
	s_delay_alu instid0(VALU_DEP_4)
	v_fma_f32 v43, v46, v13, -v43
	v_cvt_f64_f32_e32 v[36:37], v38
	v_cvt_f32_f64_e32 v6, v[6:7]
	v_cvt_f32_f64_e32 v7, v[8:9]
	;; [unrolled: 1-line block ×3, first 2 shown]
	s_waitcnt vmcnt(1)
	v_mul_f32_e32 v45, v57, v10
	v_mul_f32_e32 v44, v57, v11
	v_fmac_f32_e32 v42, v46, v12
	v_mul_f64 v[12:13], v[30:31], s[0:1]
	v_mul_f64 v[30:31], v[34:35], s[0:1]
	v_cvt_f64_f32_e32 v[34:35], v40
	s_waitcnt lgkmcnt(1)
	v_dual_mul_f32 v51, v59, v16 :: v_dual_fmac_f32 v44, v56, v10
	v_fma_f32 v40, v56, v11, -v45
	scratch_load_b64 v[56:57], off, off offset:140 ; 8-byte Folded Reload
	s_waitcnt vmcnt(1)
	v_mul_f32_e32 v48, v53, v15
	v_mul_f32_e32 v49, v53, v14
	scratch_load_b64 v[53:54], off, off offset:164 ; 8-byte Folded Reload
	v_mul_f32_e32 v50, v59, v17
	scratch_load_b64 v[59:60], off, off offset:228 ; 8-byte Folded Reload
	v_fma_f32 v38, v55, v3, -v41
	v_fma_f32 v49, v52, v15, -v49
	;; [unrolled: 1-line block ×3, first 2 shown]
	v_fmac_f32_e32 v39, v55, v2
	s_delay_alu instid0(VALU_DEP_4) | instskip(NEXT) | instid1(VALU_DEP_2)
	v_cvt_f64_f32_e32 v[10:11], v38
	v_cvt_f64_f32_e32 v[2:3], v39
	;; [unrolled: 1-line block ×5, first 2 shown]
	v_cvt_f32_f64_e32 v8, v[12:13]
	v_cvt_f32_f64_e32 v12, v[30:31]
	;; [unrolled: 1-line block ×3, first 2 shown]
	v_cvt_f64_f32_e32 v[30:31], v51
	v_mul_f64 v[10:11], v[10:11], s[0:1]
	v_mul_f64 v[28:29], v[2:3], s[0:1]
	s_delay_alu instid0(VALU_DEP_3)
	v_mul_f64 v[30:31], v[30:31], s[0:1]
	s_waitcnt vmcnt(1)
	v_mul_f32_e32 v46, v54, v5
	v_mul_f32_e32 v47, v54, v4
	s_waitcnt vmcnt(0)
	v_mul_f32_e32 v55, v60, v18
	v_fmac_f32_e32 v48, v52, v14
	v_lshlrev_b64 v[14:15], 3, v[24:25]
	v_fmac_f32_e32 v46, v53, v4
	v_fma_f32 v47, v53, v5, -v47
	v_cvt_f64_f32_e32 v[4:5], v44
	s_waitcnt lgkmcnt(0)
	v_mul_f32_e32 v53, v57, v20
	v_lshlrev_b64 v[24:25], 3, v[26:27]
	v_cvt_f64_f32_e32 v[44:45], v46
	v_cvt_f64_f32_e32 v[46:47], v47
	v_fmac_f32_e32 v50, v58, v16
	v_cvt_f64_f32_e32 v[16:17], v48
	v_fma_f32 v48, v56, v21, -v53
	v_add_co_u32 v53, vcc_lo, s2, v14
	v_cvt_f64_f32_e32 v[26:27], v49
	v_fma_f32 v49, v59, v19, -v55
	v_add_co_ci_u32_e32 v55, vcc_lo, s3, v15, vcc_lo
	s_delay_alu instid0(VALU_DEP_4) | instskip(SKIP_1) | instid1(VALU_DEP_3)
	v_add_co_u32 v2, vcc_lo, v53, v24
	v_cvt_f64_f32_e32 v[14:15], v50
	v_add_co_ci_u32_e32 v3, vcc_lo, v55, v25, vcc_lo
	v_mul_f32_e32 v52, v57, v21
	s_mul_hi_u32 s2, s4, 0xffffde88
	s_mul_i32 s3, s5, 0xffffde88
	s_sub_i32 s2, s2, s4
	s_delay_alu instid0(VALU_DEP_1)
	v_fmac_f32_e32 v52, v56, v20
	v_mul_f64 v[20:21], v[34:35], s[0:1]
	v_mul_f64 v[34:35], v[38:39], s[0:1]
	;; [unrolled: 1-line block ×3, first 2 shown]
	s_add_i32 s2, s2, s3
	s_mul_i32 s3, s4, 0xffffde88
	v_mul_f64 v[32:33], v[4:5], s[0:1]
	v_add_co_u32 v4, vcc_lo, v2, s6
	v_add_co_ci_u32_e32 v5, vcc_lo, s8, v3, vcc_lo
	v_mul_f64 v[42:43], v[44:45], s[0:1]
	s_delay_alu instid0(VALU_DEP_3) | instskip(NEXT) | instid1(VALU_DEP_3)
	v_add_co_u32 v50, vcc_lo, v4, s6
	v_add_co_ci_u32_e32 v51, vcc_lo, s8, v5, vcc_lo
	s_clause 0x2
	global_store_b64 v[2:3], v[6:7], off
	global_store_b64 v[4:5], v[8:9], off
	;; [unrolled: 1-line block ×3, first 2 shown]
	v_add_nc_u32_e32 v6, 0x2800, v255
	v_mul_f64 v[44:45], v[46:47], s[0:1]
	v_cvt_f64_f32_e32 v[46:47], v48
	v_cvt_f64_f32_e32 v[48:49], v49
	v_mul_f64 v[14:15], v[14:15], s[0:1]
	ds_load_2addr_b64 v[6:9], v6 offset0:106 offset1:169
	v_mul_f32_e32 v54, v60, v19
	v_mul_f64 v[16:17], v[16:17], s[0:1]
	v_mul_f64 v[26:27], v[26:27], s[0:1]
	s_delay_alu instid0(VALU_DEP_3)
	v_fmac_f32_e32 v54, v59, v18
	v_mul_f64 v[18:19], v[36:37], s[0:1]
	v_cvt_f32_f64_e32 v12, v[20:21]
	v_mul_f64 v[36:37], v[40:41], s[0:1]
	v_cvt_f32_f64_e32 v21, v[38:39]
	scratch_load_b64 v[38:39], off, off offset:220 ; 8-byte Folded Reload
	v_cvt_f64_f32_e32 v[40:41], v52
	v_cvt_f64_f32_e32 v[24:25], v54
	v_add_nc_u32_e32 v52, 0x400, v255
	ds_load_2addr_b64 v[2:5], v52 offset0:124 offset1:187
	v_cvt_f32_f64_e32 v14, v[14:15]
	v_cvt_f32_f64_e32 v15, v[30:31]
	;; [unrolled: 1-line block ×9, first 2 shown]
	v_mul_f64 v[34:35], v[46:47], s[0:1]
	scratch_load_b64 v[45:46], off, off offset:196 ; 8-byte Folded Reload
	v_cvt_f32_f64_e32 v10, v[32:33]
	v_mul_f64 v[32:33], v[40:41], s[0:1]
	v_cvt_f32_f64_e32 v20, v[36:37]
	v_cvt_f32_f64_e32 v28, v[42:43]
	s_waitcnt vmcnt(1) lgkmcnt(0)
	v_mul_f32_e32 v36, v39, v3
	v_mul_f32_e32 v37, v39, v2
	s_delay_alu instid0(VALU_DEP_2) | instskip(NEXT) | instid1(VALU_DEP_2)
	v_fmac_f32_e32 v36, v38, v2
	v_fma_f32 v38, v38, v3, -v37
	v_mul_f64 v[2:3], v[24:25], s[0:1]
	v_mul_f64 v[24:25], v[48:49], s[0:1]
	s_delay_alu instid0(VALU_DEP_4) | instskip(NEXT) | instid1(VALU_DEP_4)
	v_cvt_f64_f32_e32 v[36:37], v36
	v_cvt_f64_f32_e32 v[38:39], v38
	s_waitcnt vmcnt(0)
	v_mul_f32_e32 v40, v46, v23
	s_delay_alu instid0(VALU_DEP_1)
	v_fmac_f32_e32 v40, v45, v22
	v_mul_f32_e32 v22, v46, v22
	scratch_load_b64 v[46:47], off, off offset:204 ; 8-byte Folded Reload
	v_cvt_f32_f64_e32 v26, v[2:3]
	v_cvt_f32_f64_e32 v27, v[24:25]
	v_cvt_f64_f32_e32 v[40:41], v40
	v_fma_f32 v22, v45, v23, -v22
	v_mul_f64 v[24:25], v[36:37], s[0:1]
	v_mul_f64 v[30:31], v[38:39], s[0:1]
	s_waitcnt vmcnt(0)
	v_mul_f32_e32 v42, v47, v7
	v_mul_f32_e32 v43, v47, v6
	scratch_load_b64 v[47:48], off, off offset:212 ; 8-byte Folded Reload
	v_fmac_f32_e32 v42, v46, v6
	v_fma_f32 v43, v46, v7, -v43
	v_cvt_f64_f32_e32 v[6:7], v22
	s_delay_alu instid0(VALU_DEP_3) | instskip(NEXT) | instid1(VALU_DEP_3)
	v_cvt_f64_f32_e32 v[22:23], v42
	v_cvt_f64_f32_e32 v[42:43], v43
	s_delay_alu instid0(VALU_DEP_3) | instskip(NEXT) | instid1(VALU_DEP_3)
	v_mul_f64 v[6:7], v[6:7], s[0:1]
	v_mul_f64 v[22:23], v[22:23], s[0:1]
	s_delay_alu instid0(VALU_DEP_1) | instskip(SKIP_2) | instid1(VALU_DEP_1)
	v_cvt_f32_f64_e32 v22, v[22:23]
	s_waitcnt vmcnt(0)
	v_mul_f32_e32 v44, v48, v5
	v_fmac_f32_e32 v44, v47, v4
	v_mul_f32_e32 v4, v48, v4
	s_delay_alu instid0(VALU_DEP_2) | instskip(NEXT) | instid1(VALU_DEP_2)
	v_cvt_f64_f32_e32 v[44:45], v44
	v_fma_f32 v46, v47, v5, -v4
	v_add_co_u32 v4, vcc_lo, v50, s3
	v_add_co_ci_u32_e32 v5, vcc_lo, s2, v51, vcc_lo
	s_delay_alu instid0(VALU_DEP_3) | instskip(NEXT) | instid1(VALU_DEP_3)
	v_cvt_f64_f32_e32 v[46:47], v46
	v_add_co_u32 v48, vcc_lo, v4, s6
	s_delay_alu instid0(VALU_DEP_3)
	v_add_co_ci_u32_e32 v49, vcc_lo, s8, v5, vcc_lo
	global_store_b64 v[4:5], v[12:13], off
	v_add_co_u32 v4, vcc_lo, v48, s6
	global_store_b64 v[48:49], v[18:19], off
	v_cvt_f32_f64_e32 v18, v[32:33]
	v_cvt_f32_f64_e32 v19, v[34:35]
	v_add_co_ci_u32_e32 v5, vcc_lo, s8, v49, vcc_lo
	v_add_co_u32 v12, vcc_lo, v4, s3
	v_mul_f64 v[34:35], v[42:43], s[0:1]
	s_delay_alu instid0(VALU_DEP_3) | instskip(NEXT) | instid1(VALU_DEP_3)
	v_add_co_ci_u32_e32 v13, vcc_lo, s2, v5, vcc_lo
	v_add_co_u32 v2, vcc_lo, v12, s6
	global_store_b64 v[4:5], v[10:11], off
	v_add_co_ci_u32_e32 v3, vcc_lo, s8, v13, vcc_lo
	v_add_co_u32 v10, vcc_lo, v2, s6
	global_store_b64 v[12:13], v[20:21], off
	global_store_b64 v[2:3], v[28:29], off
	v_add_co_ci_u32_e32 v11, vcc_lo, s8, v3, vcc_lo
	v_add_co_u32 v12, vcc_lo, v10, s3
	v_add_nc_u32_e32 v2, 0x1800, v255
	s_delay_alu instid0(VALU_DEP_3) | instskip(NEXT) | instid1(VALU_DEP_3)
	v_add_co_ci_u32_e32 v13, vcc_lo, s2, v11, vcc_lo
	v_add_co_u32 v36, vcc_lo, v12, s6
	ds_load_2addr_b64 v[2:5], v2 offset0:114 offset1:177
	v_add_co_ci_u32_e32 v37, vcc_lo, s8, v13, vcc_lo
	v_add_co_u32 v38, vcc_lo, v36, s6
	global_store_b64 v[10:11], v[14:15], off
	global_store_b64 v[12:13], v[16:17], off
	v_add_co_ci_u32_e32 v39, vcc_lo, s8, v37, vcc_lo
	global_store_b64 v[36:37], v[18:19], off
	global_store_b64 v[38:39], v[26:27], off
	scratch_load_b64 v[15:16], off, off offset:124 ; 8-byte Folded Reload
	v_mul_f64 v[32:33], v[40:41], s[0:1]
	s_clause 0x3
	scratch_load_b64 v[41:42], off, off offset:92
	scratch_load_b64 v[51:52], off, off offset:76
	;; [unrolled: 1-line block ×4, first 2 shown]
	v_cvt_f32_f64_e32 v23, v[34:35]
	scratch_load_b64 v[35:36], off, off offset:132 ; 8-byte Folded Reload
	v_cvt_f32_f64_e32 v27, v[6:7]
	v_cvt_f32_f64_e32 v19, v[30:31]
	v_add_nc_u32_e32 v14, 0x2c00, v255
	v_cvt_f32_f64_e32 v18, v[24:25]
	v_add_co_u32 v24, vcc_lo, v38, s3
	v_mul_f64 v[20:21], v[44:45], s[0:1]
	v_add_co_ci_u32_e32 v25, vcc_lo, s2, v39, vcc_lo
	v_mul_f64 v[28:29], v[46:47], s[0:1]
	v_add_nc_u32_e32 v10, 0x800, v255
	scratch_load_b64 v[57:58], off, off offset:84 ; 8-byte Folded Reload
	ds_load_2addr_b64 v[10:13], v10 offset0:122 offset1:185
	v_cvt_f32_f64_e32 v26, v[32:33]
	scratch_load_b64 v[33:34], off, off offset:116 ; 8-byte Folded Reload
	v_cvt_f32_f64_e32 v20, v[20:21]
	v_cvt_f32_f64_e32 v21, v[28:29]
	s_waitcnt vmcnt(7) lgkmcnt(1)
	v_mul_f32_e32 v6, v16, v3
	v_mul_f32_e32 v7, v16, v2
	s_delay_alu instid0(VALU_DEP_2) | instskip(NEXT) | instid1(VALU_DEP_2)
	v_fmac_f32_e32 v6, v15, v2
	v_fma_f32 v7, v15, v3, -v7
	s_waitcnt vmcnt(2)
	v_mul_f32_e32 v30, v36, v9
	ds_load_2addr_b64 v[14:17], v14 offset0:104 offset1:167
	v_cvt_f64_f32_e32 v[2:3], v6
	v_mul_f32_e32 v6, v36, v8
	v_mul_f32_e32 v36, v42, v5
	v_fmac_f32_e32 v30, v35, v8
	v_cvt_f64_f32_e32 v[28:29], v7
	v_add_nc_u32_e32 v8, 0x1c00, v255
	v_fma_f32 v6, v35, v9, -v6
	v_fmac_f32_e32 v36, v41, v4
	v_mul_f32_e32 v4, v42, v4
	scratch_load_b64 v[42:43], off, off offset:100 ; 8-byte Folded Reload
	v_cvt_f64_f32_e32 v[30:31], v30
	v_cvt_f64_f32_e32 v[36:37], v36
	v_fma_f32 v4, v41, v5, -v4
	s_waitcnt lgkmcnt(0)
	v_mul_f32_e32 v46, v50, v17
	v_mul_f32_e32 v47, v50, v16
	s_delay_alu instid0(VALU_DEP_3) | instskip(NEXT) | instid1(VALU_DEP_3)
	v_cvt_f64_f32_e32 v[4:5], v4
	v_fmac_f32_e32 v46, v49, v16
	s_delay_alu instid0(VALU_DEP_3) | instskip(SKIP_3) | instid1(VALU_DEP_2)
	v_fma_f32 v47, v49, v17, -v47
	s_waitcnt vmcnt(1)
	v_mul_f32_e32 v32, v34, v11
	v_mul_f32_e32 v7, v34, v10
	v_fmac_f32_e32 v32, v33, v10
	s_delay_alu instid0(VALU_DEP_2)
	v_fma_f32 v34, v33, v11, -v7
	v_cvt_f64_f32_e32 v[10:11], v6
	ds_load_2addr_b64 v[6:9], v8 offset0:112 offset1:175
	v_mul_f64 v[2:3], v[2:3], s[0:1]
	v_cvt_f64_f32_e32 v[32:33], v32
	v_cvt_f64_f32_e32 v[34:35], v34
	v_mul_f64 v[28:29], v[28:29], s[0:1]
	v_mul_f64 v[30:31], v[30:31], s[0:1]
	;; [unrolled: 1-line block ×3, first 2 shown]
	s_waitcnt lgkmcnt(0)
	v_dual_mul_f32 v45, v52, v6 :: v_dual_mul_f32 v50, v55, v9
	v_mul_f64 v[4:5], v[4:5], s[0:1]
	s_delay_alu instid0(VALU_DEP_2) | instskip(NEXT) | instid1(VALU_DEP_3)
	v_fma_f32 v45, v51, v7, -v45
	v_fmac_f32_e32 v50, v54, v8
	s_delay_alu instid0(VALU_DEP_2)
	v_cvt_f64_f32_e32 v[16:17], v45
	v_mul_f64 v[10:11], v[10:11], s[0:1]
	v_cvt_f32_f64_e32 v2, v[2:3]
	v_mul_f64 v[32:33], v[32:33], s[0:1]
	v_mul_f64 v[34:35], v[34:35], s[0:1]
	v_cvt_f32_f64_e32 v3, v[28:29]
	v_cvt_f32_f64_e32 v30, v[30:31]
	;; [unrolled: 1-line block ×4, first 2 shown]
	v_mul_f64 v[16:17], v[16:17], s[0:1]
	v_cvt_f32_f64_e32 v31, v[10:11]
	v_cvt_f32_f64_e32 v32, v[32:33]
	;; [unrolled: 1-line block ×3, first 2 shown]
	s_waitcnt vmcnt(0)
	v_mul_f32_e32 v38, v43, v15
	v_mul_f32_e32 v39, v43, v14
	scratch_load_b64 v[43:44], off, off offset:108 ; 8-byte Folded Reload
	v_fmac_f32_e32 v38, v42, v14
	v_fma_f32 v14, v42, v15, -v39
	s_delay_alu instid0(VALU_DEP_1) | instskip(NEXT) | instid1(VALU_DEP_1)
	v_cvt_f64_f32_e32 v[14:15], v14
	v_mul_f64 v[14:15], v[14:15], s[0:1]
	s_delay_alu instid0(VALU_DEP_1) | instskip(SKIP_4) | instid1(VALU_DEP_3)
	v_cvt_f32_f64_e32 v5, v[14:15]
	s_waitcnt vmcnt(0)
	v_mul_f32_e32 v40, v44, v13
	v_mul_f32_e32 v41, v44, v12
	;; [unrolled: 1-line block ×3, first 2 shown]
	v_fmac_f32_e32 v40, v43, v12
	s_delay_alu instid0(VALU_DEP_3) | instskip(NEXT) | instid1(VALU_DEP_3)
	v_fma_f32 v42, v43, v13, -v41
	v_fmac_f32_e32 v44, v51, v6
	v_mul_f32_e32 v51, v55, v8
	scratch_load_b64 v[55:56], off, off offset:60 ; 8-byte Folded Reload
	v_cvt_f64_f32_e32 v[12:13], v38
	v_cvt_f64_f32_e32 v[38:39], v40
	ds_load_b64 v[40:41], v255 offset:13104
	v_mul_f32_e32 v48, v58, v1
	v_cvt_f64_f32_e32 v[42:43], v42
	v_fma_f32 v51, v54, v9, -v51
	v_cvt_f64_f32_e32 v[6:7], v44
	v_cvt_f64_f32_e32 v[44:45], v46
	v_fmac_f32_e32 v48, v57, v0
	v_mul_f32_e32 v0, v58, v0
	v_cvt_f64_f32_e32 v[46:47], v47
	v_cvt_f64_f32_e32 v[8:9], v50
	v_add_co_u32 v54, vcc_lo, v24, s6
	s_delay_alu instid0(VALU_DEP_4) | instskip(SKIP_1) | instid1(VALU_DEP_2)
	v_fma_f32 v0, v57, v1, -v0
	v_cvt_f64_f32_e32 v[48:49], v48
	v_cvt_f64_f32_e32 v[0:1], v0
	v_mul_f64 v[12:13], v[12:13], s[0:1]
	v_mul_f64 v[6:7], v[6:7], s[0:1]
	;; [unrolled: 1-line block ×3, first 2 shown]
	s_delay_alu instid0(VALU_DEP_4) | instskip(NEXT) | instid1(VALU_DEP_4)
	v_mul_f64 v[0:1], v[0:1], s[0:1]
	v_cvt_f32_f64_e32 v4, v[12:13]
	s_delay_alu instid0(VALU_DEP_4) | instskip(SKIP_4) | instid1(VALU_DEP_2)
	v_cvt_f32_f64_e32 v6, v[6:7]
	v_cvt_f32_f64_e32 v7, v[16:17]
	s_waitcnt vmcnt(0) lgkmcnt(0)
	v_mul_f32_e32 v52, v56, v41
	v_mul_f32_e32 v53, v56, v40
	v_fmac_f32_e32 v52, v55, v40
	s_delay_alu instid0(VALU_DEP_2) | instskip(SKIP_2) | instid1(VALU_DEP_4)
	v_fma_f32 v53, v55, v41, -v53
	v_cvt_f64_f32_e32 v[40:41], v51
	v_add_co_ci_u32_e32 v55, vcc_lo, s8, v25, vcc_lo
	v_cvt_f64_f32_e32 v[50:51], v52
	s_delay_alu instid0(VALU_DEP_4) | instskip(SKIP_1) | instid1(VALU_DEP_4)
	v_cvt_f64_f32_e32 v[52:53], v53
	v_add_co_u32 v56, vcc_lo, v54, s6
	v_add_co_ci_u32_e32 v57, vcc_lo, s8, v55, vcc_lo
	s_delay_alu instid0(VALU_DEP_2) | instskip(NEXT) | instid1(VALU_DEP_2)
	v_add_co_u32 v58, vcc_lo, v56, s3
	v_add_co_ci_u32_e32 v59, vcc_lo, s2, v57, vcc_lo
	global_store_b64 v[24:25], v[18:19], off
	global_store_b64 v[54:55], v[26:27], off
	;; [unrolled: 1-line block ×4, first 2 shown]
	v_mul_f64 v[18:19], v[38:39], s[0:1]
	v_mul_f64 v[20:21], v[42:43], s[0:1]
	;; [unrolled: 1-line block ×5, first 2 shown]
	v_add_co_u32 v28, vcc_lo, v58, s6
	v_add_co_ci_u32_e32 v29, vcc_lo, s8, v59, vcc_lo
	s_delay_alu instid0(VALU_DEP_2) | instskip(NEXT) | instid1(VALU_DEP_2)
	v_add_co_u32 v10, vcc_lo, v28, s6
	v_add_co_ci_u32_e32 v11, vcc_lo, s8, v29, vcc_lo
	global_store_b64 v[28:29], v[2:3], off
	v_add_co_u32 v34, vcc_lo, v10, s3
	v_add_co_ci_u32_e32 v35, vcc_lo, s2, v11, vcc_lo
	global_store_b64 v[10:11], v[30:31], off
	v_add_co_u32 v12, vcc_lo, v34, s6
	v_add_co_ci_u32_e32 v13, vcc_lo, s8, v35, vcc_lo
	v_mul_f64 v[38:39], v[40:41], s[0:1]
	global_store_b64 v[34:35], v[32:33], off
	v_mul_f64 v[40:41], v[50:51], s[0:1]
	v_mul_f64 v[42:43], v[52:53], s[0:1]
	global_store_b64 v[12:13], v[36:37], off
	v_cvt_f32_f64_e32 v14, v[18:19]
	v_cvt_f32_f64_e32 v15, v[20:21]
	;; [unrolled: 1-line block ×7, first 2 shown]
	v_add_co_u32 v20, vcc_lo, v12, s6
	v_add_co_ci_u32_e32 v21, vcc_lo, s8, v13, vcc_lo
	s_delay_alu instid0(VALU_DEP_2) | instskip(NEXT) | instid1(VALU_DEP_2)
	v_add_co_u32 v2, vcc_lo, v20, s3
	v_add_co_ci_u32_e32 v3, vcc_lo, s2, v21, vcc_lo
	global_store_b64 v[20:21], v[4:5], off
	v_add_co_u32 v10, vcc_lo, v2, s6
	v_add_co_ci_u32_e32 v11, vcc_lo, s8, v3, vcc_lo
	s_delay_alu instid0(VALU_DEP_2) | instskip(SKIP_1) | instid1(VALU_DEP_3)
	v_add_co_u32 v22, vcc_lo, v10, s6
	v_cvt_f32_f64_e32 v1, v[38:39]
	v_add_co_ci_u32_e32 v23, vcc_lo, s8, v11, vcc_lo
	v_cvt_f32_f64_e32 v8, v[40:41]
	v_cvt_f32_f64_e32 v9, v[42:43]
	v_add_co_u32 v12, vcc_lo, v22, s3
	s_delay_alu instid0(VALU_DEP_4) | instskip(NEXT) | instid1(VALU_DEP_2)
	v_add_co_ci_u32_e32 v13, vcc_lo, s2, v23, vcc_lo
	v_add_co_u32 v4, vcc_lo, v12, s6
	s_delay_alu instid0(VALU_DEP_2)
	v_add_co_ci_u32_e32 v5, vcc_lo, s8, v13, vcc_lo
	global_store_b64 v[2:3], v[14:15], off
	v_add_co_u32 v2, vcc_lo, v4, s6
	v_add_co_ci_u32_e32 v3, vcc_lo, s8, v5, vcc_lo
	global_store_b64 v[10:11], v[6:7], off
	global_store_b64 v[22:23], v[16:17], off
	;; [unrolled: 1-line block ×5, first 2 shown]
.LBB0_10:
	s_nop 0
	s_sendmsg sendmsg(MSG_DEALLOC_VGPRS)
	s_endpgm
	.section	.rodata,"a",@progbits
	.p2align	6, 0x0
	.amdhsa_kernel bluestein_single_back_len1701_dim1_sp_op_CI_CI
		.amdhsa_group_segment_fixed_size 13608
		.amdhsa_private_segment_fixed_size 512
		.amdhsa_kernarg_size 104
		.amdhsa_user_sgpr_count 15
		.amdhsa_user_sgpr_dispatch_ptr 0
		.amdhsa_user_sgpr_queue_ptr 0
		.amdhsa_user_sgpr_kernarg_segment_ptr 1
		.amdhsa_user_sgpr_dispatch_id 0
		.amdhsa_user_sgpr_private_segment_size 0
		.amdhsa_wavefront_size32 1
		.amdhsa_uses_dynamic_stack 0
		.amdhsa_enable_private_segment 1
		.amdhsa_system_sgpr_workgroup_id_x 1
		.amdhsa_system_sgpr_workgroup_id_y 0
		.amdhsa_system_sgpr_workgroup_id_z 0
		.amdhsa_system_sgpr_workgroup_info 0
		.amdhsa_system_vgpr_workitem_id 0
		.amdhsa_next_free_vgpr 256
		.amdhsa_next_free_sgpr 20
		.amdhsa_reserve_vcc 1
		.amdhsa_float_round_mode_32 0
		.amdhsa_float_round_mode_16_64 0
		.amdhsa_float_denorm_mode_32 3
		.amdhsa_float_denorm_mode_16_64 3
		.amdhsa_dx10_clamp 1
		.amdhsa_ieee_mode 1
		.amdhsa_fp16_overflow 0
		.amdhsa_workgroup_processor_mode 1
		.amdhsa_memory_ordered 1
		.amdhsa_forward_progress 0
		.amdhsa_shared_vgpr_count 0
		.amdhsa_exception_fp_ieee_invalid_op 0
		.amdhsa_exception_fp_denorm_src 0
		.amdhsa_exception_fp_ieee_div_zero 0
		.amdhsa_exception_fp_ieee_overflow 0
		.amdhsa_exception_fp_ieee_underflow 0
		.amdhsa_exception_fp_ieee_inexact 0
		.amdhsa_exception_int_div_zero 0
	.end_amdhsa_kernel
	.text
.Lfunc_end0:
	.size	bluestein_single_back_len1701_dim1_sp_op_CI_CI, .Lfunc_end0-bluestein_single_back_len1701_dim1_sp_op_CI_CI
                                        ; -- End function
	.section	.AMDGPU.csdata,"",@progbits
; Kernel info:
; codeLenInByte = 32312
; NumSgprs: 22
; NumVgprs: 256
; ScratchSize: 512
; MemoryBound: 0
; FloatMode: 240
; IeeeMode: 1
; LDSByteSize: 13608 bytes/workgroup (compile time only)
; SGPRBlocks: 2
; VGPRBlocks: 31
; NumSGPRsForWavesPerEU: 22
; NumVGPRsForWavesPerEU: 256
; Occupancy: 5
; WaveLimiterHint : 1
; COMPUTE_PGM_RSRC2:SCRATCH_EN: 1
; COMPUTE_PGM_RSRC2:USER_SGPR: 15
; COMPUTE_PGM_RSRC2:TRAP_HANDLER: 0
; COMPUTE_PGM_RSRC2:TGID_X_EN: 1
; COMPUTE_PGM_RSRC2:TGID_Y_EN: 0
; COMPUTE_PGM_RSRC2:TGID_Z_EN: 0
; COMPUTE_PGM_RSRC2:TIDIG_COMP_CNT: 0
	.text
	.p2alignl 7, 3214868480
	.fill 96, 4, 3214868480
	.type	__hip_cuid_93c4ace973ef1608,@object ; @__hip_cuid_93c4ace973ef1608
	.section	.bss,"aw",@nobits
	.globl	__hip_cuid_93c4ace973ef1608
__hip_cuid_93c4ace973ef1608:
	.byte	0                               ; 0x0
	.size	__hip_cuid_93c4ace973ef1608, 1

	.ident	"AMD clang version 19.0.0git (https://github.com/RadeonOpenCompute/llvm-project roc-6.4.0 25133 c7fe45cf4b819c5991fe208aaa96edf142730f1d)"
	.section	".note.GNU-stack","",@progbits
	.addrsig
	.addrsig_sym __hip_cuid_93c4ace973ef1608
	.amdgpu_metadata
---
amdhsa.kernels:
  - .args:
      - .actual_access:  read_only
        .address_space:  global
        .offset:         0
        .size:           8
        .value_kind:     global_buffer
      - .actual_access:  read_only
        .address_space:  global
        .offset:         8
        .size:           8
        .value_kind:     global_buffer
      - .actual_access:  read_only
        .address_space:  global
        .offset:         16
        .size:           8
        .value_kind:     global_buffer
      - .actual_access:  read_only
        .address_space:  global
        .offset:         24
        .size:           8
        .value_kind:     global_buffer
      - .actual_access:  read_only
        .address_space:  global
        .offset:         32
        .size:           8
        .value_kind:     global_buffer
      - .offset:         40
        .size:           8
        .value_kind:     by_value
      - .address_space:  global
        .offset:         48
        .size:           8
        .value_kind:     global_buffer
      - .address_space:  global
        .offset:         56
        .size:           8
        .value_kind:     global_buffer
      - .address_space:  global
        .offset:         64
        .size:           8
        .value_kind:     global_buffer
      - .address_space:  global
        .offset:         72
        .size:           8
        .value_kind:     global_buffer
      - .offset:         80
        .size:           4
        .value_kind:     by_value
      - .address_space:  global
        .offset:         88
        .size:           8
        .value_kind:     global_buffer
      - .address_space:  global
        .offset:         96
        .size:           8
        .value_kind:     global_buffer
    .group_segment_fixed_size: 13608
    .kernarg_segment_align: 8
    .kernarg_segment_size: 104
    .language:       OpenCL C
    .language_version:
      - 2
      - 0
    .max_flat_workgroup_size: 63
    .name:           bluestein_single_back_len1701_dim1_sp_op_CI_CI
    .private_segment_fixed_size: 512
    .sgpr_count:     22
    .sgpr_spill_count: 0
    .symbol:         bluestein_single_back_len1701_dim1_sp_op_CI_CI.kd
    .uniform_work_group_size: 1
    .uses_dynamic_stack: false
    .vgpr_count:     256
    .vgpr_spill_count: 129
    .wavefront_size: 32
    .workgroup_processor_mode: 1
amdhsa.target:   amdgcn-amd-amdhsa--gfx1100
amdhsa.version:
  - 1
  - 2
...

	.end_amdgpu_metadata
